;; amdgpu-corpus repo=ROCm/rocFFT kind=compiled arch=gfx906 opt=O3
	.text
	.amdgcn_target "amdgcn-amd-amdhsa--gfx906"
	.amdhsa_code_object_version 6
	.protected	fft_rtc_back_len2700_factors_3_10_10_3_3_wgs_90_tpt_90_halfLds_dp_op_CI_CI_unitstride_sbrr_R2C_dirReg ; -- Begin function fft_rtc_back_len2700_factors_3_10_10_3_3_wgs_90_tpt_90_halfLds_dp_op_CI_CI_unitstride_sbrr_R2C_dirReg
	.globl	fft_rtc_back_len2700_factors_3_10_10_3_3_wgs_90_tpt_90_halfLds_dp_op_CI_CI_unitstride_sbrr_R2C_dirReg
	.p2align	8
	.type	fft_rtc_back_len2700_factors_3_10_10_3_3_wgs_90_tpt_90_halfLds_dp_op_CI_CI_unitstride_sbrr_R2C_dirReg,@function
fft_rtc_back_len2700_factors_3_10_10_3_3_wgs_90_tpt_90_halfLds_dp_op_CI_CI_unitstride_sbrr_R2C_dirReg: ; @fft_rtc_back_len2700_factors_3_10_10_3_3_wgs_90_tpt_90_halfLds_dp_op_CI_CI_unitstride_sbrr_R2C_dirReg
; %bb.0:
	s_load_dwordx4 s[8:11], s[4:5], 0x58
	s_load_dwordx4 s[12:15], s[4:5], 0x0
	;; [unrolled: 1-line block ×3, first 2 shown]
	v_mul_u32_u24_e32 v1, 0x2d9, v0
	v_add_u32_sdwa v5, s6, v1 dst_sel:DWORD dst_unused:UNUSED_PAD src0_sel:DWORD src1_sel:WORD_1
	v_mov_b32_e32 v3, 0
	s_waitcnt lgkmcnt(0)
	v_cmp_lt_u64_e64 s[0:1], s[14:15], 2
	v_mov_b32_e32 v1, 0
	v_mov_b32_e32 v6, v3
	s_and_b64 vcc, exec, s[0:1]
	v_mov_b32_e32 v2, 0
	s_cbranch_vccnz .LBB0_8
; %bb.1:
	s_load_dwordx2 s[0:1], s[4:5], 0x10
	s_add_u32 s2, s18, 8
	s_addc_u32 s3, s19, 0
	s_add_u32 s6, s16, 8
	v_mov_b32_e32 v1, 0
	s_addc_u32 s7, s17, 0
	v_mov_b32_e32 v2, 0
	s_waitcnt lgkmcnt(0)
	s_add_u32 s20, s0, 8
	v_mov_b32_e32 v27, v2
	s_addc_u32 s21, s1, 0
	s_mov_b64 s[22:23], 1
	v_mov_b32_e32 v26, v1
.LBB0_2:                                ; =>This Inner Loop Header: Depth=1
	s_load_dwordx2 s[24:25], s[20:21], 0x0
                                        ; implicit-def: $vgpr30_vgpr31
	s_waitcnt lgkmcnt(0)
	v_or_b32_e32 v4, s25, v6
	v_cmp_ne_u64_e32 vcc, 0, v[3:4]
	s_and_saveexec_b64 s[0:1], vcc
	s_xor_b64 s[26:27], exec, s[0:1]
	s_cbranch_execz .LBB0_4
; %bb.3:                                ;   in Loop: Header=BB0_2 Depth=1
	v_cvt_f32_u32_e32 v4, s24
	v_cvt_f32_u32_e32 v7, s25
	s_sub_u32 s0, 0, s24
	s_subb_u32 s1, 0, s25
	v_mac_f32_e32 v4, 0x4f800000, v7
	v_rcp_f32_e32 v4, v4
	v_mul_f32_e32 v4, 0x5f7ffffc, v4
	v_mul_f32_e32 v7, 0x2f800000, v4
	v_trunc_f32_e32 v7, v7
	v_mac_f32_e32 v4, 0xcf800000, v7
	v_cvt_u32_f32_e32 v7, v7
	v_cvt_u32_f32_e32 v4, v4
	v_mul_lo_u32 v8, s0, v7
	v_mul_hi_u32 v9, s0, v4
	v_mul_lo_u32 v11, s1, v4
	v_mul_lo_u32 v10, s0, v4
	v_add_u32_e32 v8, v9, v8
	v_add_u32_e32 v8, v8, v11
	v_mul_hi_u32 v9, v4, v10
	v_mul_lo_u32 v11, v4, v8
	v_mul_hi_u32 v13, v4, v8
	v_mul_hi_u32 v12, v7, v10
	v_mul_lo_u32 v10, v7, v10
	v_mul_hi_u32 v14, v7, v8
	v_add_co_u32_e32 v9, vcc, v9, v11
	v_addc_co_u32_e32 v11, vcc, 0, v13, vcc
	v_mul_lo_u32 v8, v7, v8
	v_add_co_u32_e32 v9, vcc, v9, v10
	v_addc_co_u32_e32 v9, vcc, v11, v12, vcc
	v_addc_co_u32_e32 v10, vcc, 0, v14, vcc
	v_add_co_u32_e32 v8, vcc, v9, v8
	v_addc_co_u32_e32 v9, vcc, 0, v10, vcc
	v_add_co_u32_e32 v4, vcc, v4, v8
	v_addc_co_u32_e32 v7, vcc, v7, v9, vcc
	v_mul_lo_u32 v8, s0, v7
	v_mul_hi_u32 v9, s0, v4
	v_mul_lo_u32 v10, s1, v4
	v_mul_lo_u32 v11, s0, v4
	v_add_u32_e32 v8, v9, v8
	v_add_u32_e32 v8, v8, v10
	v_mul_lo_u32 v12, v4, v8
	v_mul_hi_u32 v13, v4, v11
	v_mul_hi_u32 v14, v4, v8
	v_mul_hi_u32 v10, v7, v11
	v_mul_lo_u32 v11, v7, v11
	v_mul_hi_u32 v9, v7, v8
	v_add_co_u32_e32 v12, vcc, v13, v12
	v_addc_co_u32_e32 v13, vcc, 0, v14, vcc
	v_mul_lo_u32 v8, v7, v8
	v_add_co_u32_e32 v11, vcc, v12, v11
	v_addc_co_u32_e32 v10, vcc, v13, v10, vcc
	v_addc_co_u32_e32 v9, vcc, 0, v9, vcc
	v_add_co_u32_e32 v8, vcc, v10, v8
	v_addc_co_u32_e32 v9, vcc, 0, v9, vcc
	v_add_co_u32_e32 v4, vcc, v4, v8
	v_addc_co_u32_e32 v9, vcc, v7, v9, vcc
	v_mad_u64_u32 v[7:8], s[0:1], v5, v9, 0
	v_mul_hi_u32 v10, v5, v4
	v_add_co_u32_e32 v11, vcc, v10, v7
	v_addc_co_u32_e32 v12, vcc, 0, v8, vcc
	v_mad_u64_u32 v[7:8], s[0:1], v6, v4, 0
	v_mad_u64_u32 v[9:10], s[0:1], v6, v9, 0
	v_add_co_u32_e32 v4, vcc, v11, v7
	v_addc_co_u32_e32 v4, vcc, v12, v8, vcc
	v_addc_co_u32_e32 v7, vcc, 0, v10, vcc
	v_add_co_u32_e32 v4, vcc, v4, v9
	v_addc_co_u32_e32 v9, vcc, 0, v7, vcc
	v_mul_lo_u32 v10, s25, v4
	v_mul_lo_u32 v11, s24, v9
	v_mad_u64_u32 v[7:8], s[0:1], s24, v4, 0
	v_add3_u32 v8, v8, v11, v10
	v_sub_u32_e32 v10, v6, v8
	v_mov_b32_e32 v11, s25
	v_sub_co_u32_e32 v7, vcc, v5, v7
	v_subb_co_u32_e64 v10, s[0:1], v10, v11, vcc
	v_subrev_co_u32_e64 v11, s[0:1], s24, v7
	v_subbrev_co_u32_e64 v10, s[0:1], 0, v10, s[0:1]
	v_cmp_le_u32_e64 s[0:1], s25, v10
	v_cndmask_b32_e64 v12, 0, -1, s[0:1]
	v_cmp_le_u32_e64 s[0:1], s24, v11
	v_cndmask_b32_e64 v11, 0, -1, s[0:1]
	v_cmp_eq_u32_e64 s[0:1], s25, v10
	v_cndmask_b32_e64 v10, v12, v11, s[0:1]
	v_add_co_u32_e64 v11, s[0:1], 2, v4
	v_addc_co_u32_e64 v12, s[0:1], 0, v9, s[0:1]
	v_add_co_u32_e64 v13, s[0:1], 1, v4
	v_addc_co_u32_e64 v14, s[0:1], 0, v9, s[0:1]
	v_subb_co_u32_e32 v8, vcc, v6, v8, vcc
	v_cmp_ne_u32_e64 s[0:1], 0, v10
	v_cmp_le_u32_e32 vcc, s25, v8
	v_cndmask_b32_e64 v10, v14, v12, s[0:1]
	v_cndmask_b32_e64 v12, 0, -1, vcc
	v_cmp_le_u32_e32 vcc, s24, v7
	v_cndmask_b32_e64 v7, 0, -1, vcc
	v_cmp_eq_u32_e32 vcc, s25, v8
	v_cndmask_b32_e32 v7, v12, v7, vcc
	v_cmp_ne_u32_e32 vcc, 0, v7
	v_cndmask_b32_e64 v7, v13, v11, s[0:1]
	v_cndmask_b32_e32 v31, v9, v10, vcc
	v_cndmask_b32_e32 v30, v4, v7, vcc
.LBB0_4:                                ;   in Loop: Header=BB0_2 Depth=1
	s_andn2_saveexec_b64 s[0:1], s[26:27]
	s_cbranch_execz .LBB0_6
; %bb.5:                                ;   in Loop: Header=BB0_2 Depth=1
	v_cvt_f32_u32_e32 v4, s24
	s_sub_i32 s26, 0, s24
	v_mov_b32_e32 v31, v3
	v_rcp_iflag_f32_e32 v4, v4
	v_mul_f32_e32 v4, 0x4f7ffffe, v4
	v_cvt_u32_f32_e32 v4, v4
	v_mul_lo_u32 v7, s26, v4
	v_mul_hi_u32 v7, v4, v7
	v_add_u32_e32 v4, v4, v7
	v_mul_hi_u32 v4, v5, v4
	v_mul_lo_u32 v7, v4, s24
	v_add_u32_e32 v8, 1, v4
	v_sub_u32_e32 v7, v5, v7
	v_subrev_u32_e32 v9, s24, v7
	v_cmp_le_u32_e32 vcc, s24, v7
	v_cndmask_b32_e32 v7, v7, v9, vcc
	v_cndmask_b32_e32 v4, v4, v8, vcc
	v_add_u32_e32 v8, 1, v4
	v_cmp_le_u32_e32 vcc, s24, v7
	v_cndmask_b32_e32 v30, v4, v8, vcc
.LBB0_6:                                ;   in Loop: Header=BB0_2 Depth=1
	s_or_b64 exec, exec, s[0:1]
	v_mul_lo_u32 v4, v31, s24
	v_mul_lo_u32 v9, v30, s25
	v_mad_u64_u32 v[7:8], s[0:1], v30, s24, 0
	s_load_dwordx2 s[0:1], s[6:7], 0x0
	s_load_dwordx2 s[24:25], s[2:3], 0x0
	v_add3_u32 v4, v8, v9, v4
	v_sub_co_u32_e32 v5, vcc, v5, v7
	v_subb_co_u32_e32 v4, vcc, v6, v4, vcc
	s_waitcnt lgkmcnt(0)
	v_mul_lo_u32 v6, s0, v4
	v_mul_lo_u32 v7, s1, v5
	v_mad_u64_u32 v[1:2], s[0:1], s0, v5, v[1:2]
	v_mul_lo_u32 v4, s24, v4
	v_mul_lo_u32 v8, s25, v5
	v_mad_u64_u32 v[26:27], s[0:1], s24, v5, v[26:27]
	s_add_u32 s22, s22, 1
	s_addc_u32 s23, s23, 0
	s_add_u32 s2, s2, 8
	v_add3_u32 v27, v8, v27, v4
	s_addc_u32 s3, s3, 0
	v_mov_b32_e32 v4, s14
	s_add_u32 s6, s6, 8
	v_mov_b32_e32 v5, s15
	s_addc_u32 s7, s7, 0
	v_cmp_ge_u64_e32 vcc, s[22:23], v[4:5]
	s_add_u32 s20, s20, 8
	v_add3_u32 v2, v7, v2, v6
	s_addc_u32 s21, s21, 0
	s_cbranch_vccnz .LBB0_9
; %bb.7:                                ;   in Loop: Header=BB0_2 Depth=1
	v_mov_b32_e32 v5, v30
	v_mov_b32_e32 v6, v31
	s_branch .LBB0_2
.LBB0_8:
	v_mov_b32_e32 v27, v2
	v_mov_b32_e32 v31, v6
	;; [unrolled: 1-line block ×4, first 2 shown]
.LBB0_9:
	s_load_dwordx2 s[4:5], s[4:5], 0x28
	s_lshl_b64 s[6:7], s[14:15], 3
	s_add_u32 s2, s18, s6
	s_addc_u32 s3, s19, s7
                                        ; implicit-def: $vgpr24
                                        ; implicit-def: $vgpr28
                                        ; implicit-def: $vgpr39
                                        ; implicit-def: $vgpr38
                                        ; implicit-def: $vgpr37
                                        ; implicit-def: $vgpr36
                                        ; implicit-def: $vgpr35
                                        ; implicit-def: $vgpr34
                                        ; implicit-def: $vgpr33
                                        ; implicit-def: $vgpr32
	s_waitcnt lgkmcnt(0)
	v_cmp_gt_u64_e64 s[0:1], s[4:5], v[30:31]
	v_cmp_le_u64_e32 vcc, s[4:5], v[30:31]
	s_and_saveexec_b64 s[4:5], vcc
	s_xor_b64 s[4:5], exec, s[4:5]
	s_cbranch_execz .LBB0_11
; %bb.10:
	s_mov_b32 s14, 0x2d82d83
	v_mul_hi_u32 v1, v0, s14
	v_mul_u32_u24_e32 v1, 0x5a, v1
	v_sub_u32_e32 v24, v0, v1
	v_add_u32_e32 v28, 0x5a, v24
	v_add_u32_e32 v39, 0xb4, v24
	v_add_u32_e32 v38, 0x10e, v24
	v_add_u32_e32 v37, 0x168, v24
	v_add_u32_e32 v36, 0x1c2, v24
	v_add_u32_e32 v35, 0x21c, v24
	v_add_u32_e32 v34, 0x276, v24
	v_add_u32_e32 v33, 0x2d0, v24
	v_add_u32_e32 v32, 0x32a, v24
                                        ; implicit-def: $vgpr0
                                        ; implicit-def: $vgpr1_vgpr2
.LBB0_11:
	s_andn2_saveexec_b64 s[4:5], s[4:5]
	s_cbranch_execz .LBB0_13
; %bb.12:
	s_add_u32 s6, s16, s6
	s_addc_u32 s7, s17, s7
	s_load_dwordx2 s[6:7], s[6:7], 0x0
	s_mov_b32 s14, 0x2d82d83
	v_mul_hi_u32 v5, v0, s14
	s_waitcnt lgkmcnt(0)
	v_mul_lo_u32 v6, s7, v30
	v_mul_lo_u32 v7, s6, v31
	v_mad_u64_u32 v[3:4], s[6:7], s6, v30, 0
	v_mul_u32_u24_e32 v5, 0x5a, v5
	v_sub_u32_e32 v24, v0, v5
	v_add3_u32 v4, v4, v7, v6
	v_lshlrev_b64 v[3:4], 4, v[3:4]
	v_mov_b32_e32 v0, s9
	v_add_co_u32_e32 v3, vcc, s8, v3
	v_addc_co_u32_e32 v4, vcc, v0, v4, vcc
	v_lshlrev_b64 v[0:1], 4, v[1:2]
	v_lshlrev_b32_e32 v25, 4, v24
	v_add_co_u32_e32 v0, vcc, v3, v0
	v_addc_co_u32_e32 v1, vcc, v4, v1, vcc
	v_add_co_u32_e32 v28, vcc, v0, v25
	v_addc_co_u32_e32 v29, vcc, 0, v1, vcc
	s_movk_i32 s6, 0x1000
	v_add_co_u32_e32 v32, vcc, s6, v28
	v_addc_co_u32_e32 v33, vcc, 0, v29, vcc
	s_movk_i32 s6, 0x2000
	;; [unrolled: 3-line block ×7, first 2 shown]
	v_add_co_u32_e32 v112, vcc, s6, v28
	v_addc_co_u32_e32 v113, vcc, 0, v29, vcc
	s_mov_b32 s6, 0x8000
	v_add_co_u32_e32 v114, vcc, s6, v28
	v_addc_co_u32_e32 v115, vcc, 0, v29, vcc
	v_add_co_u32_e32 v124, vcc, 0x9000, v28
	v_addc_co_u32_e32 v125, vcc, 0, v29, vcc
	global_load_dwordx4 v[0:3], v[28:29], off
	global_load_dwordx4 v[4:7], v[28:29], off offset:1440
	global_load_dwordx4 v[8:11], v[28:29], off offset:2880
	;; [unrolled: 1-line block ×3, first 2 shown]
	v_add_co_u32_e32 v28, vcc, 0xa000, v28
	global_load_dwordx4 v[16:19], v[32:33], off offset:1664
	global_load_dwordx4 v[20:23], v[32:33], off offset:3104
	s_nop 0
	global_load_dwordx4 v[32:35], v[48:49], off offset:448
	global_load_dwordx4 v[36:39], v[48:49], off offset:1888
	global_load_dwordx4 v[40:43], v[48:49], off offset:3328
	global_load_dwordx4 v[44:47], v[64:65], off offset:672
	s_nop 0
	global_load_dwordx4 v[48:51], v[64:65], off offset:2112
	global_load_dwordx4 v[52:55], v[64:65], off offset:3552
	;; [unrolled: 5-line block ×3, first 2 shown]
	s_nop 0
	global_load_dwordx4 v[72:75], v[88:89], off offset:2560
	global_load_dwordx4 v[76:79], v[88:89], off offset:4000
	;; [unrolled: 1-line block ×4, first 2 shown]
	s_nop 0
	global_load_dwordx4 v[88:91], v[112:113], off offset:128
	global_load_dwordx4 v[92:95], v[112:113], off offset:1568
	v_addc_co_u32_e32 v29, vcc, 0, v29, vcc
	global_load_dwordx4 v[96:99], v[112:113], off offset:3008
	global_load_dwordx4 v[100:103], v[114:115], off offset:352
	;; [unrolled: 1-line block ×4, first 2 shown]
	s_nop 0
	global_load_dwordx4 v[112:115], v[124:125], off offset:576
	global_load_dwordx4 v[116:119], v[124:125], off offset:2016
	global_load_dwordx4 v[120:123], v[124:125], off offset:3456
	v_add_u32_e32 v25, 0, v25
	global_load_dwordx4 v[124:127], v[28:29], off offset:800
	v_add_u32_e32 v28, 0x5a, v24
	s_waitcnt vmcnt(29)
	ds_write_b128 v25, v[0:3]
	s_waitcnt vmcnt(28)
	ds_write_b128 v25, v[4:7] offset:1440
	s_waitcnt vmcnt(27)
	ds_write_b128 v25, v[8:11] offset:2880
	;; [unrolled: 2-line block ×24, first 2 shown]
	v_add_u32_e32 v39, 0xb4, v24
	v_add_u32_e32 v38, 0x10e, v24
	;; [unrolled: 1-line block ×8, first 2 shown]
	s_waitcnt vmcnt(4)
	ds_write_b128 v25, v[108:111] offset:36000
	s_waitcnt vmcnt(3)
	ds_write_b128 v25, v[112:115] offset:37440
	;; [unrolled: 2-line block ×5, first 2 shown]
.LBB0_13:
	s_or_b64 exec, exec, s[4:5]
	v_lshlrev_b32_e32 v25, 4, v24
	v_add_u32_e32 v114, 0, v25
	s_load_dwordx2 s[2:3], s[2:3], 0x0
	s_waitcnt lgkmcnt(0)
	s_barrier
	ds_read_b128 v[0:3], v114
	ds_read_b128 v[4:7], v114 offset:14400
	ds_read_b128 v[8:11], v114 offset:12960
	;; [unrolled: 1-line block ×7, first 2 shown]
	s_waitcnt lgkmcnt(6)
	v_add_f64 v[44:45], v[0:1], v[4:5]
	v_add_f64 v[46:47], v[2:3], v[6:7]
	ds_read_b128 v[52:55], v114 offset:2880
	ds_read_b128 v[56:59], v114 offset:17280
	;; [unrolled: 1-line block ×3, first 2 shown]
	s_waitcnt lgkmcnt(3)
	v_add_f64 v[64:65], v[48:49], v[20:21]
	v_add_f64 v[66:67], v[50:51], v[22:23]
	;; [unrolled: 1-line block ×3, first 2 shown]
	v_add_f64 v[115:116], v[6:7], -v[18:19]
	v_add_f64 v[44:45], v[44:45], v[16:17]
	v_add_f64 v[46:47], v[46:47], v[18:19]
	;; [unrolled: 1-line block ×3, first 2 shown]
	v_add_f64 v[119:120], v[4:5], -v[16:17]
	ds_read_b128 v[4:7], v114 offset:31680
	s_waitcnt lgkmcnt(2)
	v_add_f64 v[68:69], v[52:53], v[56:57]
	v_add_f64 v[70:71], v[54:55], v[58:59]
	s_waitcnt lgkmcnt(1)
	v_add_f64 v[16:17], v[64:65], v[60:61]
	v_add_f64 v[18:19], v[66:67], v[62:63]
	;; [unrolled: 1-line block ×3, first 2 shown]
	v_add_f64 v[123:124], v[22:23], -v[62:63]
	v_add_f64 v[125:126], v[22:23], v[62:63]
	v_add_f64 v[127:128], v[20:21], -v[60:61]
	ds_read_b128 v[60:63], v114 offset:18720
	ds_read_b128 v[64:67], v114 offset:4320
	s_waitcnt lgkmcnt(2)
	v_add_f64 v[20:21], v[68:69], v[4:5]
	v_add_f64 v[22:23], v[70:71], v[6:7]
	ds_read_b128 v[68:71], v114 offset:5760
	ds_read_b128 v[72:75], v114 offset:20160
	ds_read_b128 v[76:79], v114 offset:33120
	s_waitcnt lgkmcnt(3)
	v_add_f64 v[80:81], v[64:65], v[60:61]
	v_add_f64 v[82:83], v[66:67], v[62:63]
	;; [unrolled: 1-line block ×3, first 2 shown]
	v_add_f64 v[131:132], v[58:59], -v[6:7]
	v_add_f64 v[133:134], v[58:59], v[6:7]
	v_add_f64 v[135:136], v[56:57], -v[4:5]
	ds_read_b128 v[4:7], v114 offset:34560
	s_waitcnt lgkmcnt(2)
	v_add_f64 v[84:85], v[68:69], v[72:73]
	v_add_f64 v[86:87], v[70:71], v[74:75]
	s_waitcnt lgkmcnt(1)
	v_add_f64 v[56:57], v[80:81], v[76:77]
	v_add_f64 v[58:59], v[82:83], v[78:79]
	;; [unrolled: 1-line block ×3, first 2 shown]
	v_add_f64 v[139:140], v[62:63], -v[78:79]
	v_add_f64 v[141:142], v[62:63], v[78:79]
	v_add_f64 v[143:144], v[60:61], -v[76:77]
	ds_read_b128 v[60:63], v114 offset:21600
	ds_read_b128 v[76:79], v114 offset:7200
	s_waitcnt lgkmcnt(2)
	v_add_f64 v[80:81], v[84:85], v[4:5]
	v_add_f64 v[82:83], v[86:87], v[6:7]
	ds_read_b128 v[84:87], v114 offset:8640
	ds_read_b128 v[88:91], v114 offset:23040
	;; [unrolled: 1-line block ×3, first 2 shown]
	s_waitcnt lgkmcnt(3)
	v_add_f64 v[96:97], v[76:77], v[60:61]
	v_add_f64 v[98:99], v[78:79], v[62:63]
	;; [unrolled: 1-line block ×3, first 2 shown]
	v_add_f64 v[147:148], v[74:75], -v[6:7]
	v_add_f64 v[149:150], v[74:75], v[6:7]
	v_add_f64 v[151:152], v[72:73], -v[4:5]
	ds_read_b128 v[4:7], v114 offset:37440
	s_waitcnt lgkmcnt(1)
	v_add_f64 v[153:154], v[60:61], v[92:93]
	v_add_f64 v[72:73], v[96:97], v[92:93]
	;; [unrolled: 1-line block ×3, first 2 shown]
	v_add_f64 v[155:156], v[62:63], -v[94:95]
	v_add_f64 v[157:158], v[62:63], v[94:95]
	v_add_f64 v[159:160], v[60:61], -v[92:93]
	ds_read_b128 v[60:63], v114 offset:24480
	ds_read_b128 v[92:95], v114 offset:10080
	v_add_f64 v[96:97], v[84:85], v[88:89]
	v_add_f64 v[98:99], v[86:87], v[90:91]
	ds_read_b128 v[100:103], v114 offset:11520
	ds_read_b128 v[104:107], v114 offset:25920
	;; [unrolled: 1-line block ×3, first 2 shown]
	s_waitcnt lgkmcnt(3)
	v_add_f64 v[163:164], v[94:95], v[62:63]
	v_add_f64 v[165:166], v[88:89], v[4:5]
	v_add_f64 v[167:168], v[90:91], -v[6:7]
	v_add_f64 v[169:170], v[90:91], v[6:7]
	v_add_f64 v[96:97], v[96:97], v[4:5]
	;; [unrolled: 1-line block ×3, first 2 shown]
	v_add_f64 v[171:172], v[88:89], -v[4:5]
	ds_read_b128 v[4:7], v114 offset:40320
	s_waitcnt lgkmcnt(1)
	v_add_f64 v[90:91], v[163:164], v[110:111]
	v_add_f64 v[163:164], v[102:103], v[106:107]
	;; [unrolled: 1-line block ×4, first 2 shown]
	v_add_f64 v[175:176], v[62:63], -v[110:111]
	v_add_f64 v[110:111], v[62:63], v[110:111]
	v_fma_f64 v[112:113], v[112:113], -0.5, v[0:1]
	v_add_f64 v[181:182], v[42:43], v[14:15]
	v_add_f64 v[177:178], v[8:9], v[40:41]
	s_waitcnt lgkmcnt(0)
	v_add_f64 v[62:63], v[163:164], v[6:7]
	v_add_f64 v[163:164], v[106:107], -v[6:7]
	v_add_f64 v[106:107], v[106:107], v[6:7]
	v_add_f64 v[6:7], v[179:180], v[14:15]
	v_add_f64 v[179:180], v[42:43], -v[14:15]
	v_fma_f64 v[14:15], v[117:118], -0.5, v[2:3]
	v_add_f64 v[88:89], v[161:162], v[108:109]
	v_add_f64 v[161:162], v[100:101], v[104:105]
	s_mov_b32 s4, 0xe8584caa
	s_mov_b32 s5, 0xbfebb67a
	;; [unrolled: 1-line block ×4, first 2 shown]
	v_fma_f64 v[0:1], v[115:116], s[4:5], v[112:113]
	v_fma_f64 v[2:3], v[119:120], s[6:7], v[14:15]
	v_add_f64 v[173:174], v[60:61], v[108:109]
	v_add_f64 v[108:109], v[60:61], -v[108:109]
	v_add_f64 v[60:61], v[161:162], v[4:5]
	v_add_f64 v[161:162], v[104:105], v[4:5]
	v_add_f64 v[104:105], v[104:105], -v[4:5]
	v_add_f64 v[4:5], v[177:178], v[12:13]
	v_add_f64 v[177:178], v[40:41], v[12:13]
	v_add_f64 v[117:118], v[40:41], -v[12:13]
	v_fma_f64 v[12:13], v[115:116], s[6:7], v[112:113]
	v_fma_f64 v[14:15], v[119:120], s[4:5], v[14:15]
	v_fma_f64 v[40:41], v[121:122], -0.5, v[48:49]
	v_fma_f64 v[42:43], v[125:126], -0.5, v[50:51]
	v_mad_u32_u24 v29, v24, 48, 0
	s_barrier
	ds_write_b128 v29, v[44:47]
	ds_write_b128 v29, v[0:3] offset:16
	ds_write_b128 v29, v[12:15] offset:32
	v_fma_f64 v[44:45], v[129:130], -0.5, v[52:53]
	v_fma_f64 v[46:47], v[133:134], -0.5, v[54:55]
	v_fma_f64 v[0:1], v[123:124], s[4:5], v[40:41]
	v_fma_f64 v[2:3], v[127:128], s[6:7], v[42:43]
	;; [unrolled: 1-line block ×4, first 2 shown]
	v_mad_i32_i24 v29, v28, 48, 0
	ds_write_b128 v29, v[16:19]
	v_fma_f64 v[16:17], v[131:132], s[4:5], v[44:45]
	v_fma_f64 v[18:19], v[135:136], s[6:7], v[46:47]
	;; [unrolled: 1-line block ×4, first 2 shown]
	ds_write_b128 v29, v[0:3] offset:16
	ds_write_b128 v29, v[12:15] offset:32
	v_fma_f64 v[2:3], v[137:138], -0.5, v[64:65]
	v_fma_f64 v[14:15], v[141:142], -0.5, v[66:67]
	v_mad_i32_i24 v0, v39, 48, 0
	ds_write_b128 v0, v[20:23]
	ds_write_b128 v0, v[16:19] offset:16
	ds_write_b128 v0, v[40:43] offset:32
	v_fma_f64 v[18:19], v[145:146], -0.5, v[68:69]
	v_fma_f64 v[22:23], v[149:150], -0.5, v[70:71]
	v_fma_f64 v[40:41], v[153:154], -0.5, v[76:77]
	v_fma_f64 v[0:1], v[139:140], s[4:5], v[2:3]
	v_fma_f64 v[12:13], v[139:140], s[6:7], v[2:3]
	;; [unrolled: 1-line block ×4, first 2 shown]
	v_fma_f64 v[42:43], v[157:158], -0.5, v[78:79]
	v_fma_f64 v[16:17], v[147:148], s[4:5], v[18:19]
	v_fma_f64 v[20:21], v[147:148], s[6:7], v[18:19]
	;; [unrolled: 1-line block ×4, first 2 shown]
	v_mad_i32_i24 v29, v38, 48, 0
	ds_write_b128 v29, v[56:59]
	ds_write_b128 v29, v[0:3] offset:16
	ds_write_b128 v29, v[12:15] offset:32
	v_mad_i32_i24 v0, v37, 48, 0
	ds_write_b128 v0, v[80:83]
	ds_write_b128 v0, v[16:19] offset:16
	ds_write_b128 v0, v[20:23] offset:32
	v_fma_f64 v[0:1], v[155:156], s[4:5], v[40:41]
	v_fma_f64 v[2:3], v[159:160], s[6:7], v[42:43]
	v_fma_f64 v[16:17], v[165:166], -0.5, v[84:85]
	v_fma_f64 v[18:19], v[169:170], -0.5, v[86:87]
	v_fma_f64 v[12:13], v[155:156], s[6:7], v[40:41]
	v_fma_f64 v[14:15], v[159:160], s[4:5], v[42:43]
	v_fma_f64 v[20:21], v[173:174], -0.5, v[92:93]
	v_fma_f64 v[22:23], v[110:111], -0.5, v[94:95]
	v_mad_i32_i24 v29, v36, 48, 0
	ds_write_b128 v29, v[0:3] offset:16
	v_fma_f64 v[0:1], v[167:168], s[4:5], v[16:17]
	v_fma_f64 v[2:3], v[171:172], s[6:7], v[18:19]
	v_mad_i32_i24 v116, v35, 48, 0
	ds_write_b128 v29, v[12:15] offset:32
	v_fma_f64 v[12:13], v[167:168], s[6:7], v[16:17]
	v_fma_f64 v[14:15], v[171:172], s[4:5], v[18:19]
	;; [unrolled: 1-line block ×4, first 2 shown]
	ds_write_b128 v29, v[72:75]
	v_fma_f64 v[20:21], v[175:176], s[6:7], v[20:21]
	v_fma_f64 v[22:23], v[108:109], s[4:5], v[22:23]
	ds_write_b128 v116, v[96:99]
	ds_write_b128 v116, v[0:3] offset:16
	ds_write_b128 v116, v[12:15] offset:32
	v_fma_f64 v[2:3], v[161:162], -0.5, v[100:101]
	v_fma_f64 v[12:13], v[106:107], -0.5, v[102:103]
	v_mad_i32_i24 v0, v34, 48, 0
	v_fma_f64 v[14:15], v[177:178], -0.5, v[8:9]
	ds_write_b128 v0, v[16:19] offset:16
	v_fma_f64 v[18:19], v[181:182], -0.5, v[10:11]
	ds_write_b128 v0, v[88:91]
	ds_write_b128 v0, v[20:23] offset:32
	v_fma_f64 v[0:1], v[163:164], s[4:5], v[2:3]
	v_fma_f64 v[8:9], v[163:164], s[6:7], v[2:3]
	;; [unrolled: 1-line block ×7, first 2 shown]
	v_mad_i32_i24 v20, v33, 48, 0
	s_movk_i32 s8, 0xab
	v_fma_f64 v[18:19], v[117:118], s[4:5], v[18:19]
	ds_write_b128 v20, v[60:63]
	ds_write_b128 v20, v[0:3] offset:16
	ds_write_b128 v20, v[8:11] offset:32
	v_mul_lo_u16_sdwa v0, v24, s8 dst_sel:DWORD dst_unused:UNUSED_PAD src0_sel:BYTE_0 src1_sel:DWORD
	v_lshrrev_b16_e32 v126, 9, v0
	v_mul_lo_u16_e32 v0, 3, v126
	v_sub_u16_e32 v127, v24, v0
	v_mov_b32_e32 v121, 9
	v_mul_u32_u24_sdwa v0, v127, v121 dst_sel:DWORD dst_unused:UNUSED_PAD src0_sel:BYTE_0 src1_sel:DWORD
	v_mad_i32_i24 v115, v32, 48, 0
	v_lshlrev_b32_e32 v8, 4, v0
	ds_write_b128 v115, v[4:7]
	ds_write_b128 v115, v[12:15] offset:16
	ds_write_b128 v115, v[16:19] offset:32
	s_waitcnt lgkmcnt(0)
	s_barrier
	global_load_dwordx4 v[0:3], v8, s[12:13]
	global_load_dwordx4 v[4:7], v8, s[12:13] offset:16
	global_load_dwordx4 v[12:15], v8, s[12:13] offset:32
	;; [unrolled: 1-line block ×7, first 2 shown]
	v_mul_lo_u16_sdwa v9, v28, s8 dst_sel:DWORD dst_unused:UNUSED_PAD src0_sel:BYTE_0 src1_sel:DWORD
	v_lshrrev_b16_e32 v122, 9, v9
	v_mul_lo_u16_e32 v9, 3, v122
	v_sub_u16_e32 v123, v28, v9
	global_load_dwordx4 v[52:55], v8, s[12:13] offset:128
	v_mul_u32_u24_sdwa v8, v123, v121 dst_sel:DWORD dst_unused:UNUSED_PAD src0_sel:BYTE_0 src1_sel:DWORD
	v_lshl_add_u32 v117, v38, 4, 0
	v_lshlrev_b32_e32 v98, 4, v8
	ds_read_b128 v[8:11], v117
	global_load_dwordx4 v[56:59], v98, s[12:13]
	global_load_dwordx4 v[60:63], v98, s[12:13] offset:16
	v_lshlrev_b32_e32 v118, 5, v35
	v_sub_u32_e32 v120, v116, v118
	ds_read_b128 v[64:67], v120
	v_lshlrev_b32_e32 v29, 5, v32
	v_sub_u32_e32 v119, v115, v29
	ds_read_b128 v[68:71], v119
	global_load_dwordx4 v[72:75], v98, s[12:13] offset:32
	global_load_dwordx4 v[80:83], v98, s[12:13] offset:48
	ds_read_b128 v[84:87], v114 offset:31680
	s_mov_b32 s8, 0xaaab
	s_mov_b32 s16, 0x134454ff
	;; [unrolled: 1-line block ×16, first 2 shown]
	s_movk_i32 s28, 0x89
	s_waitcnt vmcnt(12) lgkmcnt(3)
	v_mul_f64 v[76:77], v[10:11], v[2:3]
	v_mul_f64 v[2:3], v[8:9], v[2:3]
	s_waitcnt vmcnt(11) lgkmcnt(2)
	v_mul_f64 v[78:79], v[66:67], v[6:7]
	v_mul_f64 v[6:7], v[64:65], v[6:7]
	;; [unrolled: 3-line block ×3, first 2 shown]
	v_fma_f64 v[100:101], v[8:9], v[0:1], v[76:77]
	v_fma_f64 v[104:105], v[10:11], v[0:1], -v[2:3]
	global_load_dwordx4 v[0:3], v98, s[12:13] offset:64
	v_fma_f64 v[10:11], v[64:65], v[4:5], v[78:79]
	ds_read_b128 v[76:79], v114 offset:17280
	v_fma_f64 v[8:9], v[66:67], v[4:5], -v[6:7]
	ds_read_b128 v[4:7], v114 offset:21600
	ds_read_b128 v[90:93], v114 offset:18720
	global_load_dwordx4 v[94:97], v98, s[12:13] offset:80
	v_fma_f64 v[102:103], v[68:69], v[12:13], v[88:89]
	v_fma_f64 v[106:107], v[70:71], v[12:13], -v[14:15]
	global_load_dwordx4 v[12:15], v98, s[12:13] offset:96
	global_load_dwordx4 v[132:135], v98, s[12:13] offset:112
	v_mul_u32_u24_sdwa v88, v39, s8 dst_sel:DWORD dst_unused:UNUSED_PAD src0_sel:WORD_0 src1_sel:DWORD
	v_lshrrev_b32_e32 v124, 17, v88
	v_mul_lo_u16_e32 v88, 3, v124
	global_load_dwordx4 v[136:139], v98, s[12:13] offset:128
	v_sub_u16_e32 v125, v39, v88
	v_mul_u32_u24_e32 v88, 9, v125
	v_lshlrev_b32_e32 v88, 4, v88
	global_load_dwordx4 v[140:143], v88, s[12:13]
	global_load_dwordx4 v[144:147], v88, s[12:13] offset:16
	global_load_dwordx4 v[152:155], v88, s[12:13] offset:32
	;; [unrolled: 1-line block ×7, first 2 shown]
	s_waitcnt vmcnt(22) lgkmcnt(2)
	v_mul_f64 v[68:69], v[78:79], v[18:19]
	v_mul_f64 v[18:19], v[76:77], v[18:19]
	global_load_dwordx4 v[180:183], v88, s[12:13] offset:128
	s_waitcnt vmcnt(22) lgkmcnt(1)
	v_mul_f64 v[70:71], v[6:7], v[22:23]
	v_mul_f64 v[22:23], v[4:5], v[22:23]
	ds_read_b128 v[64:67], v114 offset:25920
	ds_read_b128 v[184:187], v114 offset:24480
	;; [unrolled: 1-line block ×3, first 2 shown]
	v_fma_f64 v[110:111], v[76:77], v[16:17], v[68:69]
	v_fma_f64 v[108:109], v[78:79], v[16:17], -v[18:19]
	ds_read_b128 v[16:19], v114 offset:30240
	s_waitcnt vmcnt(21) lgkmcnt(3)
	v_mul_f64 v[68:69], v[66:67], v[42:43]
	v_mul_f64 v[42:43], v[64:65], v[42:43]
	v_fma_f64 v[112:113], v[4:5], v[20:21], v[70:71]
	v_fma_f64 v[188:189], v[6:7], v[20:21], -v[22:23]
	s_waitcnt vmcnt(20) lgkmcnt(0)
	v_mul_f64 v[70:71], v[18:19], v[46:47]
	v_mul_f64 v[46:47], v[16:17], v[46:47]
	ds_read_b128 v[20:23], v114 offset:34560
	ds_read_b128 v[128:131], v114 offset:20160
	v_fma_f64 v[190:191], v[64:65], v[40:41], v[68:69]
	v_fma_f64 v[192:193], v[66:67], v[40:41], -v[42:43]
	ds_read_b128 v[40:43], v114 offset:38880
	s_waitcnt vmcnt(19) lgkmcnt(2)
	v_mul_f64 v[64:65], v[22:23], v[50:51]
	v_mul_f64 v[50:51], v[20:21], v[50:51]
	v_fma_f64 v[194:195], v[16:17], v[44:45], v[70:71]
	v_fma_f64 v[196:197], v[18:19], v[44:45], -v[46:47]
	ds_read_b128 v[16:19], v114 offset:40320
	ds_read_b128 v[44:47], v114 offset:5760
	s_waitcnt vmcnt(18) lgkmcnt(2)
	v_mul_f64 v[66:67], v[42:43], v[54:55]
	v_mul_f64 v[54:55], v[40:41], v[54:55]
	v_fma_f64 v[198:199], v[20:21], v[48:49], v[64:65]
	v_fma_f64 v[200:201], v[22:23], v[48:49], -v[50:51]
	ds_read_b128 v[20:23], v114 offset:7200
	s_waitcnt vmcnt(17) lgkmcnt(1)
	v_mul_f64 v[64:65], v[46:47], v[58:59]
	v_mul_f64 v[58:59], v[44:45], v[58:59]
	ds_read_b128 v[48:51], v114 offset:10080
	v_fma_f64 v[202:203], v[40:41], v[52:53], v[66:67]
	v_fma_f64 v[204:205], v[42:43], v[52:53], -v[54:55]
	ds_read_b128 v[52:55], v114 offset:11520
	ds_read_b128 v[40:43], v114 offset:14400
	s_waitcnt vmcnt(16) lgkmcnt(2)
	v_mul_f64 v[66:67], v[50:51], v[62:63]
	v_fma_f64 v[70:71], v[44:45], v[56:57], v[64:65]
	v_fma_f64 v[78:79], v[46:47], v[56:57], -v[58:59]
	ds_read_b128 v[44:47], v114 offset:15840
	ds_read_b128 v[56:59], v114 offset:23040
	v_mul_f64 v[62:63], v[48:49], v[62:63]
	ds_read_b128 v[148:151], v114 offset:27360
	ds_read_b128 v[4:7], v114 offset:28800
	s_waitcnt vmcnt(15) lgkmcnt(4)
	v_mul_f64 v[68:69], v[42:43], v[74:75]
	v_mul_f64 v[76:77], v[40:41], v[74:75]
	s_waitcnt vmcnt(14)
	v_mul_f64 v[98:99], v[92:93], v[82:83]
	v_mul_f64 v[82:83], v[90:91], v[82:83]
	v_fma_f64 v[66:67], v[48:49], v[60:61], v[66:67]
	v_fma_f64 v[64:65], v[50:51], v[60:61], -v[62:63]
	s_mov_b32 s8, s16
	s_waitcnt vmcnt(13) lgkmcnt(2)
	v_mul_f64 v[206:207], v[58:59], v[2:3]
	v_fma_f64 v[74:75], v[40:41], v[72:73], v[68:69]
	v_mul_f64 v[2:3], v[56:57], v[2:3]
	v_fma_f64 v[88:89], v[42:43], v[72:73], -v[76:77]
	v_fma_f64 v[72:73], v[90:91], v[80:81], v[98:99]
	s_waitcnt vmcnt(12) lgkmcnt(1)
	v_mul_f64 v[48:49], v[150:151], v[96:97]
	v_mul_f64 v[50:51], v[148:149], v[96:97]
	v_fma_f64 v[68:69], v[92:93], v[80:81], -v[82:83]
	v_fma_f64 v[80:81], v[56:57], v[0:1], v[206:207]
	s_waitcnt vmcnt(11)
	v_mul_f64 v[56:57], v[86:87], v[14:15]
	v_mul_f64 v[14:15], v[84:85], v[14:15]
	ds_read_b128 v[40:43], v114 offset:36000
	v_fma_f64 v[92:93], v[58:59], v[0:1], -v[2:3]
	ds_read_b128 v[0:3], v114 offset:37440
	v_fma_f64 v[82:83], v[148:149], v[94:95], v[48:49]
	v_fma_f64 v[76:77], v[150:151], v[94:95], -v[50:51]
	s_waitcnt vmcnt(9)
	v_mul_f64 v[48:49], v[18:19], v[138:139]
	v_mul_f64 v[50:51], v[16:17], v[138:139]
	s_waitcnt lgkmcnt(1)
	v_mul_f64 v[58:59], v[42:43], v[134:135]
	v_mul_f64 v[60:61], v[40:41], v[134:135]
	v_fma_f64 v[96:97], v[86:87], v[12:13], -v[14:15]
	s_waitcnt vmcnt(8)
	v_mul_f64 v[14:15], v[20:21], v[142:143]
	v_fma_f64 v[90:91], v[84:85], v[12:13], v[56:57]
	v_mul_f64 v[12:13], v[22:23], v[142:143]
	v_fma_f64 v[94:95], v[16:17], v[136:137], v[48:49]
	v_fma_f64 v[98:99], v[18:19], v[136:137], -v[50:51]
	s_waitcnt vmcnt(7)
	v_mul_f64 v[18:19], v[54:55], v[146:147]
	s_waitcnt vmcnt(6)
	v_mul_f64 v[48:49], v[46:47], v[154:155]
	v_mul_f64 v[50:51], v[44:45], v[154:155]
	v_fma_f64 v[86:87], v[40:41], v[132:133], v[58:59]
	v_fma_f64 v[84:85], v[42:43], v[132:133], -v[60:61]
	v_mul_f64 v[42:43], v[52:53], v[146:147]
	v_fma_f64 v[40:41], v[22:23], v[140:141], -v[14:15]
	s_waitcnt vmcnt(5)
	v_mul_f64 v[14:15], v[130:131], v[158:159]
	v_mul_f64 v[22:23], v[128:129], v[158:159]
	v_fma_f64 v[16:17], v[20:21], v[140:141], v[12:13]
	v_fma_f64 v[20:21], v[52:53], v[144:145], v[18:19]
	v_fma_f64 v[18:19], v[44:45], v[152:153], v[48:49]
	v_fma_f64 v[44:45], v[46:47], v[152:153], -v[50:51]
	s_waitcnt vmcnt(3)
	v_mul_f64 v[50:51], v[6:7], v[166:167]
	s_waitcnt vmcnt(2)
	v_mul_f64 v[56:57], v[170:171], v[174:175]
	v_fma_f64 v[12:13], v[54:55], v[144:145], -v[42:43]
	v_fma_f64 v[42:43], v[128:129], v[156:157], v[14:15]
	v_fma_f64 v[14:15], v[130:131], v[156:157], -v[22:23]
	ds_read_b128 v[128:131], v114 offset:41760
	ds_read_b128 v[132:135], v114
	v_mul_f64 v[46:47], v[186:187], v[162:163]
	v_mul_f64 v[54:55], v[4:5], v[166:167]
	;; [unrolled: 1-line block ×3, first 2 shown]
	v_fma_f64 v[52:53], v[4:5], v[164:165], v[50:51]
	v_fma_f64 v[50:51], v[168:169], v[172:173], v[56:57]
	s_waitcnt lgkmcnt(0)
	v_add_f64 v[4:5], v[132:133], v[10:11]
	v_add_f64 v[56:57], v[100:101], v[102:103]
	s_waitcnt vmcnt(1)
	v_mul_f64 v[60:61], v[2:3], v[178:179]
	v_fma_f64 v[22:23], v[184:185], v[160:161], v[46:47]
	v_fma_f64 v[46:47], v[6:7], v[164:165], -v[54:55]
	v_fma_f64 v[54:55], v[170:171], v[172:173], -v[58:59]
	v_add_f64 v[58:59], v[104:105], v[106:107]
	v_mul_f64 v[62:63], v[0:1], v[178:179]
	s_waitcnt vmcnt(0)
	v_mul_f64 v[136:137], v[130:131], v[182:183]
	v_mul_f64 v[138:139], v[128:129], v[182:183]
	v_add_f64 v[4:5], v[4:5], v[110:111]
	v_add_f64 v[140:141], v[56:57], v[112:113]
	;; [unrolled: 1-line block ×3, first 2 shown]
	v_fma_f64 v[60:61], v[0:1], v[176:177], v[60:61]
	v_add_f64 v[142:143], v[58:59], v[188:189]
	v_fma_f64 v[56:57], v[2:3], v[176:177], -v[62:63]
	v_fma_f64 v[58:59], v[128:129], v[180:181], v[136:137]
	v_fma_f64 v[62:63], v[130:131], v[180:181], -v[138:139]
	v_add_f64 v[0:1], v[4:5], v[190:191]
	v_add_f64 v[4:5], v[140:141], v[194:195]
	;; [unrolled: 1-line block ×5, first 2 shown]
	v_mul_f64 v[48:49], v[184:185], v[162:163]
	v_add_f64 v[128:129], v[110:111], v[190:191]
	v_add_f64 v[130:131], v[10:11], v[198:199]
	;; [unrolled: 1-line block ×4, first 2 shown]
	v_fma_f64 v[136:137], v[136:137], -0.5, v[134:135]
	v_fma_f64 v[134:135], v[138:139], -0.5, v[134:135]
	v_add_f64 v[138:139], v[188:189], v[196:197]
	v_add_f64 v[2:3], v[6:7], v[192:193]
	;; [unrolled: 1-line block ×3, first 2 shown]
	v_add_f64 v[152:153], v[102:103], -v[202:203]
	v_fma_f64 v[48:49], v[186:187], v[160:161], -v[48:49]
	v_add_f64 v[4:5], v[0:1], v[140:141]
	v_add_f64 v[0:1], v[0:1], -v[140:141]
	v_add_f64 v[140:141], v[112:113], v[194:195]
	v_fma_f64 v[138:139], v[138:139], -0.5, v[104:105]
	v_add_f64 v[2:3], v[2:3], v[200:201]
	v_add_f64 v[142:143], v[6:7], v[204:205]
	v_fma_f64 v[128:129], v[128:129], -0.5, v[132:133]
	v_fma_f64 v[130:131], v[130:131], -0.5, v[132:133]
	v_add_f64 v[132:133], v[10:11], -v[110:111]
	v_add_f64 v[144:145], v[198:199], -v[190:191]
	v_add_f64 v[150:151], v[106:107], -v[188:189]
	v_fma_f64 v[140:141], v[140:141], -0.5, v[100:101]
	v_add_f64 v[154:155], v[106:107], -v[204:205]
	v_add_f64 v[156:157], v[204:205], -v[196:197]
	v_fma_f64 v[158:159], v[152:153], s[8:9], v[138:139]
	v_add_f64 v[160:161], v[112:113], -v[194:195]
	v_add_f64 v[6:7], v[2:3], v[142:143]
	v_add_f64 v[2:3], v[2:3], -v[142:143]
	v_add_f64 v[132:133], v[132:133], v[144:145]
	v_add_f64 v[142:143], v[8:9], -v[108:109]
	v_add_f64 v[144:145], v[200:201], -v[192:193]
	;; [unrolled: 1-line block ×4, first 2 shown]
	v_fma_f64 v[162:163], v[154:155], s[16:17], v[140:141]
	v_add_f64 v[164:165], v[188:189], -v[196:197]
	v_add_f64 v[150:151], v[150:151], v[156:157]
	v_fma_f64 v[156:157], v[160:161], s[14:15], v[158:159]
	v_add_f64 v[158:159], v[106:107], v[204:205]
	v_add_f64 v[142:143], v[142:143], v[144:145]
	v_add_f64 v[144:145], v[8:9], -v[200:201]
	v_add_f64 v[146:147], v[146:147], v[148:149]
	v_add_f64 v[168:169], v[102:103], v[202:203]
	v_fma_f64 v[148:149], v[164:165], s[18:19], v[162:163]
	v_add_f64 v[162:163], v[10:11], -v[198:199]
	v_fma_f64 v[156:157], v[150:151], s[20:21], v[156:157]
	v_fma_f64 v[104:105], v[158:159], -0.5, v[104:105]
	v_add_f64 v[158:159], v[108:109], -v[192:193]
	v_fma_f64 v[166:167], v[144:145], s[16:17], v[128:129]
	v_add_f64 v[172:173], v[110:111], -v[190:191]
	v_add_f64 v[106:107], v[188:189], -v[106:107]
	;; [unrolled: 1-line block ×3, first 2 shown]
	v_fma_f64 v[170:171], v[162:163], s[8:9], v[136:137]
	v_fma_f64 v[168:169], v[168:169], -0.5, v[100:101]
	v_fma_f64 v[100:101], v[160:161], s[16:17], v[104:105]
	v_fma_f64 v[148:149], v[146:147], s[20:21], v[148:149]
	v_mul_f64 v[174:175], v[156:157], s[18:19]
	v_mul_f64 v[156:157], v[156:157], s[26:27]
	v_fma_f64 v[166:167], v[158:159], s[18:19], v[166:167]
	v_add_f64 v[102:103], v[112:113], -v[102:103]
	v_fma_f64 v[170:171], v[172:173], s[14:15], v[170:171]
	v_add_f64 v[112:113], v[194:195], -v[202:203]
	v_add_f64 v[106:107], v[106:107], v[176:177]
	v_fma_f64 v[176:177], v[164:165], s[8:9], v[168:169]
	v_fma_f64 v[100:101], v[152:153], s[14:15], v[100:101]
	;; [unrolled: 1-line block ×6, first 2 shown]
	v_add_f64 v[10:11], v[110:111], -v[10:11]
	v_add_f64 v[170:171], v[102:103], v[112:113]
	v_fma_f64 v[102:103], v[154:155], s[18:19], v[176:177]
	v_fma_f64 v[110:111], v[106:107], s[20:21], v[100:101]
	v_add_f64 v[112:113], v[190:191], -v[198:199]
	v_add_f64 v[8:9], v[108:109], -v[8:9]
	;; [unrolled: 1-line block ×3, first 2 shown]
	v_fma_f64 v[176:177], v[158:159], s[8:9], v[130:131]
	v_fma_f64 v[104:105], v[160:161], s[8:9], v[104:105]
	;; [unrolled: 1-line block ×4, first 2 shown]
	v_mul_f64 v[182:183], v[110:111], s[16:17]
	v_mul_f64 v[110:111], v[110:111], s[20:21]
	v_add_f64 v[100:101], v[156:157], v[174:175]
	v_add_f64 v[184:185], v[10:11], v[112:113]
	;; [unrolled: 1-line block ×3, first 2 shown]
	v_fma_f64 v[10:11], v[144:145], s[18:19], v[176:177]
	v_add_f64 v[8:9], v[156:157], -v[174:175]
	v_fma_f64 v[104:105], v[152:153], s[18:19], v[104:105]
	v_fma_f64 v[140:141], v[154:155], s[8:9], v[140:141]
	;; [unrolled: 1-line block ×6, first 2 shown]
	v_add_f64 v[102:103], v[166:167], v[148:149]
	v_fma_f64 v[168:169], v[184:185], s[20:21], v[10:11]
	v_add_f64 v[10:11], v[166:167], -v[148:149]
	v_fma_f64 v[130:131], v[158:159], s[16:17], v[130:131]
	v_fma_f64 v[134:135], v[172:173], s[8:9], v[134:135]
	;; [unrolled: 1-line block ×12, first 2 shown]
	v_mul_f64 v[144:145], v[104:105], s[16:17]
	v_mul_f64 v[104:105], v[104:105], s[22:23]
	v_fma_f64 v[128:129], v[158:159], s[14:15], v[128:129]
	v_fma_f64 v[140:141], v[146:147], s[20:21], v[140:141]
	v_mul_f64 v[146:147], v[138:139], s[18:19]
	v_fma_f64 v[136:137], v[172:173], s[18:19], v[136:137]
	v_mul_f64 v[138:139], v[138:139], s[24:25]
	v_fma_f64 v[156:157], v[180:181], s[20:21], v[182:183]
	v_fma_f64 v[176:177], v[186:187], s[20:21], v[108:109]
	;; [unrolled: 1-line block ×10, first 2 shown]
	v_add_f64 v[109:110], v[168:169], v[156:157]
	v_add_f64 v[111:112], v[176:177], v[174:175]
	;; [unrolled: 1-line block ×4, first 2 shown]
	v_add_f64 v[136:137], v[148:149], -v[144:145]
	v_add_f64 v[140:141], v[106:107], v[146:147]
	v_add_f64 v[144:145], v[106:107], -v[146:147]
	v_lshl_add_u32 v107, v28, 4, 0
	v_add_f64 v[138:139], v[150:151], -v[104:105]
	v_add_f64 v[142:143], v[152:153], v[154:155]
	v_add_f64 v[146:147], v[152:153], -v[154:155]
	v_lshl_add_u32 v106, v39, 4, 0
	ds_read_b128 v[148:151], v107
	ds_read_b128 v[152:155], v106
	v_mov_b32_e32 v108, 4
	v_mul_u32_u24_e32 v104, 0x1e0, v126
	v_lshlrev_b32_sdwa v105, v108, v127 dst_sel:DWORD dst_unused:UNUSED_PAD src0_sel:DWORD src1_sel:BYTE_0
	v_add_f64 v[128:129], v[168:169], -v[156:157]
	v_add_f64 v[130:131], v[176:177], -v[174:175]
	v_add3_u32 v104, 0, v104, v105
	s_waitcnt lgkmcnt(0)
	s_barrier
	ds_write_b128 v104, v[4:7]
	ds_write_b128 v104, v[100:103] offset:48
	ds_write_b128 v104, v[109:112] offset:96
	;; [unrolled: 1-line block ×8, first 2 shown]
	v_add_f64 v[0:1], v[72:73], v[82:83]
	v_add_f64 v[2:3], v[148:149], v[66:67]
	;; [unrolled: 1-line block ×6, first 2 shown]
	ds_write_b128 v104, v[144:147] offset:432
	v_add_f64 v[100:101], v[78:79], v[88:89]
	v_fma_f64 v[102:103], v[0:1], -0.5, v[148:149]
	v_add_f64 v[0:1], v[2:3], v[72:73]
	v_fma_f64 v[104:105], v[4:5], -0.5, v[148:149]
	;; [unrolled: 2-line block ×3, first 2 shown]
	v_add_f64 v[4:5], v[8:9], v[68:69]
	v_add_f64 v[6:7], v[10:11], v[80:81]
	;; [unrolled: 1-line block ×5, first 2 shown]
	v_add_f64 v[126:127], v[74:75], -v[94:95]
	v_fma_f64 v[111:112], v[2:3], -0.5, v[78:79]
	v_add_f64 v[10:11], v[64:65], v[84:85]
	v_add_f64 v[2:3], v[4:5], v[76:77]
	v_add_f64 v[4:5], v[6:7], v[90:91]
	v_add_f64 v[6:7], v[8:9], v[96:97]
	v_add_f64 v[8:9], v[88:89], -v[92:93]
	v_add_f64 v[128:129], v[98:99], -v[96:97]
	v_fma_f64 v[100:101], v[100:101], -0.5, v[70:71]
	v_add_f64 v[130:131], v[88:89], -v[98:99]
	v_fma_f64 v[132:133], v[126:127], s[8:9], v[111:112]
	v_add_f64 v[134:135], v[80:81], -v[90:91]
	v_add_f64 v[136:137], v[0:1], v[86:87]
	v_add_f64 v[4:5], v[4:5], v[94:95]
	v_add_f64 v[138:139], v[74:75], -v[80:81]
	v_add_f64 v[140:141], v[94:95], -v[90:91]
	v_add_f64 v[128:129], v[8:9], v[128:129]
	v_fma_f64 v[8:9], v[130:131], s[16:17], v[100:101]
	v_add_f64 v[142:143], v[92:93], -v[96:97]
	v_fma_f64 v[132:133], v[134:135], s[14:15], v[132:133]
	v_fma_f64 v[144:145], v[10:11], -0.5, v[150:151]
	v_add_f64 v[0:1], v[136:137], v[4:5]
	v_add_f64 v[146:147], v[66:67], -v[72:73]
	v_add_f64 v[138:139], v[138:139], v[140:141]
	v_add_f64 v[140:141], v[86:87], -v[82:83]
	v_add_f64 v[148:149], v[64:65], -v[68:69]
	;; [unrolled: 1-line block ×4, first 2 shown]
	v_add_f64 v[136:137], v[88:89], v[98:99]
	v_fma_f64 v[8:9], v[142:143], s[18:19], v[8:9]
	v_fma_f64 v[132:133], v[128:129], s[20:21], v[132:133]
	v_add_f64 v[158:159], v[64:65], -v[84:85]
	v_add_f64 v[140:141], v[146:147], v[140:141]
	v_add_f64 v[88:89], v[92:93], -v[88:89]
	v_add_f64 v[146:147], v[148:149], v[150:151]
	v_add_f64 v[148:149], v[74:75], v[94:95]
	v_fma_f64 v[78:79], v[136:137], -0.5, v[78:79]
	v_fma_f64 v[8:9], v[138:139], s[20:21], v[8:9]
	v_mul_f64 v[156:157], v[132:133], s[18:19]
	v_mul_f64 v[132:133], v[132:133], s[26:27]
	v_add_f64 v[92:93], v[96:97], -v[98:99]
	v_add_f64 v[136:137], v[66:67], -v[86:87]
	;; [unrolled: 1-line block ×3, first 2 shown]
	v_fma_f64 v[70:71], v[148:149], -0.5, v[70:71]
	v_fma_f64 v[96:97], v[134:135], s[16:17], v[78:79]
	v_add_f64 v[6:7], v[6:7], v[98:99]
	v_fma_f64 v[150:151], v[8:9], s[26:27], v[156:157]
	v_fma_f64 v[156:157], v[158:159], s[16:17], v[102:103]
	;; [unrolled: 1-line block ×3, first 2 shown]
	v_add_f64 v[8:9], v[80:81], -v[74:75]
	v_add_f64 v[74:75], v[90:91], -v[94:95]
	v_add_f64 v[80:81], v[88:89], v[92:93]
	v_fma_f64 v[88:89], v[142:143], s[8:9], v[70:71]
	v_fma_f64 v[90:91], v[126:127], s[14:15], v[96:97]
	;; [unrolled: 1-line block ×3, first 2 shown]
	v_add_f64 v[148:149], v[72:73], -v[82:83]
	v_fma_f64 v[92:93], v[160:161], s[18:19], v[156:157]
	v_add_f64 v[66:67], v[72:73], -v[66:67]
	v_add_f64 v[72:73], v[82:83], -v[86:87]
	v_add_f64 v[64:65], v[68:69], -v[64:65]
	v_add_f64 v[74:75], v[8:9], v[74:75]
	v_fma_f64 v[8:9], v[130:131], s[18:19], v[88:89]
	v_fma_f64 v[68:69], v[80:81], s[20:21], v[90:91]
	v_add_f64 v[76:77], v[76:77], -v[84:85]
	v_fma_f64 v[94:95], v[148:149], s[14:15], v[98:99]
	v_add_f64 v[10:11], v[2:3], v[84:85]
	v_fma_f64 v[82:83], v[140:141], s[20:21], v[92:93]
	v_fma_f64 v[84:85], v[160:161], s[8:9], v[104:105]
	;; [unrolled: 1-line block ×3, first 2 shown]
	v_add_f64 v[72:73], v[66:67], v[72:73]
	v_fma_f64 v[66:67], v[74:75], s[20:21], v[8:9]
	v_mul_f64 v[90:91], v[68:69], s[16:17]
	v_add_f64 v[76:77], v[64:65], v[76:77]
	v_mul_f64 v[64:65], v[68:69], s[20:21]
	v_fma_f64 v[88:89], v[146:147], s[20:21], v[94:95]
	v_fma_f64 v[78:79], v[134:135], s[8:9], v[78:79]
	;; [unrolled: 1-line block ×4, first 2 shown]
	v_add_f64 v[8:9], v[82:83], v[150:151]
	v_fma_f64 v[86:87], v[66:67], s[20:21], v[90:91]
	v_add_f64 v[2:3], v[10:11], v[6:7]
	v_fma_f64 v[90:91], v[66:67], s[8:9], v[64:65]
	v_add_f64 v[64:65], v[82:83], -v[150:151]
	v_fma_f64 v[82:83], v[126:127], s[16:17], v[111:112]
	v_add_f64 v[6:7], v[10:11], -v[6:7]
	v_add_f64 v[10:11], v[88:89], v[132:133]
	v_add_f64 v[66:67], v[88:89], -v[132:133]
	v_fma_f64 v[88:89], v[142:143], s[16:17], v[70:71]
	v_fma_f64 v[78:79], v[126:127], s[18:19], v[78:79]
	;; [unrolled: 1-line block ×17, first 2 shown]
	v_mul_f64 v[88:89], v[78:79], s[16:17]
	v_mul_f64 v[78:79], v[78:79], s[22:23]
	v_fma_f64 v[94:95], v[160:161], s[14:15], v[94:95]
	v_fma_f64 v[96:97], v[138:139], s[20:21], v[96:97]
	v_mul_f64 v[102:103], v[82:83], s[18:19]
	v_mul_f64 v[82:83], v[82:83], s[24:25]
	v_fma_f64 v[84:85], v[76:77], s[20:21], v[84:85]
	v_fma_f64 v[80:81], v[72:73], s[20:21], v[80:81]
	v_fma_f64 v[98:99], v[76:77], s[20:21], v[98:99]
	v_fma_f64 v[88:89], v[74:75], s[22:23], v[88:89]
	v_fma_f64 v[104:105], v[74:75], s[8:9], v[78:79]
	v_fma_f64 v[94:95], v[140:141], s[20:21], v[94:95]
	v_fma_f64 v[100:101], v[146:147], s[20:21], v[100:101]
	v_fma_f64 v[102:103], v[96:97], s[24:25], v[102:103]
	v_fma_f64 v[96:97], v[96:97], s[14:15], v[82:83]
	v_add_f64 v[68:69], v[92:93], v[86:87]
	v_add_f64 v[70:71], v[84:85], v[90:91]
	;; [unrolled: 1-line block ×4, first 2 shown]
	v_add_f64 v[72:73], v[92:93], -v[86:87]
	v_add_f64 v[74:75], v[84:85], -v[90:91]
	v_add_f64 v[84:85], v[94:95], v[102:103]
	v_add_f64 v[86:87], v[100:101], v[96:97]
	v_mul_u32_u24_e32 v92, 0x1e0, v122
	v_lshlrev_b32_sdwa v93, v108, v123 dst_sel:DWORD dst_unused:UNUSED_PAD src0_sel:DWORD src1_sel:BYTE_0
	v_add3_u32 v92, 0, v92, v93
	ds_write_b128 v92, v[0:3]
	ds_write_b128 v92, v[8:11] offset:48
	ds_write_b128 v92, v[68:71] offset:96
	;; [unrolled: 1-line block ×6, first 2 shown]
	v_add_f64 v[2:3], v[20:21], v[60:61]
	v_add_f64 v[8:9], v[48:49], v[54:55]
	v_add_f64 v[80:81], v[80:81], -v[88:89]
	v_add_f64 v[82:83], v[98:99], -v[104:105]
	v_add_f64 v[0:1], v[42:43], v[52:53]
	ds_write_b128 v92, v[72:75] offset:336
	ds_write_b128 v92, v[80:83] offset:384
	v_add_f64 v[4:5], v[14:15], v[46:47]
	v_add_f64 v[10:11], v[154:155], v[12:13]
	v_fma_f64 v[66:67], v[2:3], -0.5, v[152:153]
	v_add_f64 v[2:3], v[22:23], v[50:51]
	v_fma_f64 v[72:73], v[8:9], -0.5, v[40:41]
	v_add_f64 v[74:75], v[18:19], -v[58:59]
	v_add_f64 v[88:89], v[94:95], -v[102:103]
	;; [unrolled: 1-line block ×3, first 2 shown]
	v_fma_f64 v[64:65], v[0:1], -0.5, v[152:153]
	v_add_f64 v[0:1], v[152:153], v[20:21]
	v_fma_f64 v[68:69], v[4:5], -0.5, v[154:155]
	v_add_f64 v[4:5], v[10:11], v[14:15]
	v_add_f64 v[8:9], v[44:45], -v[48:49]
	v_add_f64 v[10:11], v[62:63], -v[54:55]
	v_fma_f64 v[76:77], v[2:3], -0.5, v[16:17]
	v_add_f64 v[78:79], v[44:45], -v[62:63]
	v_fma_f64 v[2:3], v[74:75], s[8:9], v[72:73]
	v_add_f64 v[80:81], v[22:23], -v[50:51]
	v_add_f64 v[6:7], v[12:13], v[56:57]
	ds_write_b128 v92, v[88:91] offset:432
	v_add_f64 v[0:1], v[0:1], v[42:43]
	v_add_f64 v[82:83], v[40:41], v[44:45]
	v_add_f64 v[84:85], v[18:19], -v[22:23]
	v_add_f64 v[86:87], v[58:59], -v[50:51]
	v_add_f64 v[88:89], v[8:9], v[10:11]
	v_fma_f64 v[8:9], v[78:79], s[16:17], v[76:77]
	v_add_f64 v[90:91], v[48:49], -v[54:55]
	v_fma_f64 v[2:3], v[80:81], s[14:15], v[2:3]
	v_fma_f64 v[70:71], v[6:7], -0.5, v[154:155]
	v_add_f64 v[6:7], v[16:17], v[18:19]
	v_add_f64 v[10:11], v[82:83], v[48:49]
	;; [unrolled: 1-line block ×3, first 2 shown]
	v_add_f64 v[82:83], v[20:21], -v[42:43]
	v_add_f64 v[92:93], v[60:61], -v[52:53]
	v_add_f64 v[84:85], v[84:85], v[86:87]
	v_fma_f64 v[8:9], v[90:91], s[18:19], v[8:9]
	v_fma_f64 v[2:3], v[88:89], s[20:21], v[2:3]
	v_add_f64 v[6:7], v[6:7], v[22:23]
	v_add_f64 v[86:87], v[12:13], -v[14:15]
	v_add_f64 v[96:97], v[0:1], v[60:61]
	v_add_f64 v[94:95], v[56:57], -v[46:47]
	v_add_f64 v[82:83], v[82:83], v[92:93]
	v_add_f64 v[92:93], v[44:45], v[62:63]
	v_fma_f64 v[0:1], v[84:85], s[20:21], v[8:9]
	v_mul_f64 v[8:9], v[2:3], s[18:19]
	v_mul_f64 v[2:3], v[2:3], s[26:27]
	v_add_f64 v[4:5], v[4:5], v[46:47]
	v_add_f64 v[6:7], v[6:7], v[50:51]
	;; [unrolled: 1-line block ×4, first 2 shown]
	v_fma_f64 v[40:41], v[92:93], -0.5, v[40:41]
	v_add_f64 v[94:95], v[12:13], -v[56:57]
	v_fma_f64 v[100:101], v[0:1], s[26:27], v[8:9]
	v_fma_f64 v[102:103], v[0:1], s[14:15], v[2:3]
	v_add_f64 v[0:1], v[18:19], v[58:59]
	v_add_f64 v[98:99], v[4:5], v[56:57]
	;; [unrolled: 1-line block ×4, first 2 shown]
	v_add_f64 v[2:3], v[48:49], -v[44:45]
	v_add_f64 v[44:45], v[20:21], -v[60:61]
	v_add_f64 v[10:11], v[54:55], -v[62:63]
	v_fma_f64 v[54:55], v[80:81], s[16:17], v[40:41]
	v_fma_f64 v[16:17], v[0:1], -0.5, v[16:17]
	v_fma_f64 v[8:9], v[94:95], s[16:17], v[64:65]
	v_add_f64 v[48:49], v[14:15], -v[46:47]
	v_add_f64 v[20:21], v[42:43], -v[20:21]
	;; [unrolled: 1-line block ×4, first 2 shown]
	v_fma_f64 v[60:61], v[44:45], s[8:9], v[68:69]
	v_add_f64 v[18:19], v[22:23], -v[18:19]
	v_add_f64 v[22:23], v[50:51], -v[58:59]
	v_add_f64 v[50:51], v[2:3], v[10:11]
	v_fma_f64 v[10:11], v[90:91], s[8:9], v[16:17]
	v_fma_f64 v[54:55], v[74:75], s[14:15], v[54:55]
	;; [unrolled: 1-line block ×3, first 2 shown]
	v_add_f64 v[12:13], v[14:15], -v[12:13]
	v_fma_f64 v[58:59], v[42:43], s[14:15], v[60:61]
	v_add_f64 v[20:21], v[20:21], v[52:53]
	v_add_f64 v[22:23], v[18:19], v[22:23]
	v_add_f64 v[18:19], v[46:47], -v[56:57]
	v_fma_f64 v[10:11], v[78:79], s[18:19], v[10:11]
	v_fma_f64 v[14:15], v[50:51], s[20:21], v[54:55]
	;; [unrolled: 1-line block ×7, first 2 shown]
	v_add_f64 v[60:61], v[12:13], v[18:19]
	v_fma_f64 v[52:53], v[22:23], s[20:21], v[10:11]
	v_mul_f64 v[58:59], v[14:15], s[16:17]
	v_mul_f64 v[12:13], v[14:15], s[20:21]
	v_fma_f64 v[14:15], v[94:95], s[18:19], v[8:9]
	v_fma_f64 v[18:19], v[44:45], s[14:15], v[54:55]
	v_add_f64 v[8:9], v[46:47], v[100:101]
	v_add_f64 v[10:11], v[56:57], v[102:103]
	v_fma_f64 v[40:41], v[74:75], s[18:19], v[40:41]
	v_fma_f64 v[66:67], v[48:49], s[16:17], v[66:67]
	;; [unrolled: 1-line block ×4, first 2 shown]
	v_add_f64 v[12:13], v[46:47], -v[100:101]
	v_fma_f64 v[46:47], v[74:75], s[16:17], v[72:73]
	v_fma_f64 v[58:59], v[20:21], s[20:21], v[14:15]
	v_add_f64 v[14:15], v[56:57], -v[102:103]
	v_fma_f64 v[56:57], v[90:91], s[16:17], v[16:17]
	v_fma_f64 v[72:73], v[78:79], s[8:9], v[76:77]
	;; [unrolled: 1-line block ×17, first 2 shown]
	v_mul_f64 v[56:57], v[40:41], s[16:17]
	v_mul_f64 v[40:41], v[40:41], s[22:23]
	v_fma_f64 v[64:65], v[84:85], s[20:21], v[68:69]
	v_fma_f64 v[60:61], v[60:61], s[20:21], v[44:45]
	v_mul_f64 v[66:67], v[46:47], s[18:19]
	v_mul_f64 v[46:47], v[46:47], s[24:25]
	v_fma_f64 v[68:69], v[82:83], s[20:21], v[48:49]
	v_fma_f64 v[70:71], v[86:87], s[20:21], v[42:43]
	;; [unrolled: 1-line block ×4, first 2 shown]
	v_add_f64 v[0:1], v[96:97], v[4:5]
	v_add_f64 v[2:3], v[98:99], v[6:7]
	v_fma_f64 v[66:67], v[64:65], s[24:25], v[66:67]
	v_fma_f64 v[64:65], v[64:65], s[14:15], v[46:47]
	v_add_f64 v[16:17], v[58:59], v[54:55]
	v_add_f64 v[18:19], v[62:63], v[52:53]
	;; [unrolled: 1-line block ×4, first 2 shown]
	v_add_f64 v[44:45], v[50:51], -v[44:45]
	v_add_f64 v[4:5], v[96:97], -v[4:5]
	v_add_f64 v[48:49], v[68:69], v[66:67]
	v_add_f64 v[50:51], v[70:71], v[64:65]
	v_add_f64 v[6:7], v[98:99], -v[6:7]
	v_add_f64 v[46:47], v[60:61], -v[56:57]
	v_mul_u32_u24_e32 v56, 0x1e0, v124
	v_lshlrev_b32_e32 v57, 4, v125
	v_add_f64 v[20:21], v[58:59], -v[54:55]
	v_add_f64 v[22:23], v[62:63], -v[52:53]
	v_add3_u32 v56, 0, v56, v57
	v_add_f64 v[52:53], v[68:69], -v[66:67]
	v_add_f64 v[54:55], v[70:71], -v[64:65]
	ds_write_b128 v56, v[0:3]
	ds_write_b128 v56, v[8:11] offset:48
	ds_write_b128 v56, v[16:19] offset:96
	;; [unrolled: 1-line block ×9, first 2 shown]
	v_mul_lo_u16_sdwa v0, v24, s28 dst_sel:DWORD dst_unused:UNUSED_PAD src0_sel:BYTE_0 src1_sel:DWORD
	v_lshrrev_b16_e32 v113, 12, v0
	v_mul_lo_u16_e32 v0, 30, v113
	v_sub_u16_e32 v122, v24, v0
	v_mul_u32_u24_sdwa v0, v122, v121 dst_sel:DWORD dst_unused:UNUSED_PAD src0_sel:BYTE_0 src1_sel:DWORD
	v_lshlrev_b32_e32 v52, 4, v0
	s_waitcnt lgkmcnt(0)
	s_barrier
	global_load_dwordx4 v[0:3], v52, s[12:13] offset:432
	global_load_dwordx4 v[4:7], v52, s[12:13] offset:448
	;; [unrolled: 1-line block ×9, first 2 shown]
	v_mul_lo_u16_sdwa v52, v28, s28 dst_sel:DWORD dst_unused:UNUSED_PAD src0_sel:BYTE_0 src1_sel:DWORD
	v_lshrrev_b16_e32 v111, 12, v52
	v_mul_lo_u16_e32 v52, 30, v111
	v_sub_u16_e32 v112, v28, v52
	v_mul_u32_u24_sdwa v52, v112, v121 dst_sel:DWORD dst_unused:UNUSED_PAD src0_sel:BYTE_0 src1_sel:DWORD
	v_lshlrev_b32_e32 v94, 4, v52
	global_load_dwordx4 v[52:55], v94, s[12:13] offset:432
	global_load_dwordx4 v[60:63], v94, s[12:13] offset:448
	ds_read_b128 v[56:59], v117
	ds_read_b128 v[80:83], v114 offset:31680
	ds_read_b128 v[64:67], v120
	global_load_dwordx4 v[72:75], v94, s[12:13] offset:464
	ds_read_b128 v[68:71], v119
	global_load_dwordx4 v[86:89], v94, s[12:13] offset:496
	global_load_dwordx4 v[90:93], v94, s[12:13] offset:512
	s_mov_b32 s28, 0x8889
	s_waitcnt vmcnt(13) lgkmcnt(3)
	v_mul_f64 v[76:77], v[58:59], v[2:3]
	v_mul_f64 v[2:3], v[56:57], v[2:3]
	s_waitcnt vmcnt(12) lgkmcnt(1)
	v_mul_f64 v[78:79], v[66:67], v[6:7]
	v_mul_f64 v[6:7], v[64:65], v[6:7]
	s_waitcnt vmcnt(11) lgkmcnt(0)
	v_mul_f64 v[84:85], v[70:71], v[10:11]
	v_fma_f64 v[98:99], v[56:57], v[0:1], v[76:77]
	v_fma_f64 v[102:103], v[58:59], v[0:1], -v[2:3]
	global_load_dwordx4 v[56:59], v94, s[12:13] offset:480
	v_mul_f64 v[0:1], v[68:69], v[10:11]
	v_fma_f64 v[2:3], v[64:65], v[4:5], v[78:79]
	ds_read_b128 v[76:79], v114 offset:17280
	v_fma_f64 v[96:97], v[66:67], v[4:5], -v[6:7]
	ds_read_b128 v[4:7], v114 offset:18720
	v_fma_f64 v[100:101], v[68:69], v[8:9], v[84:85]
	s_waitcnt vmcnt(11) lgkmcnt(1)
	v_mul_f64 v[84:85], v[78:79], v[14:15]
	v_mul_f64 v[14:15], v[76:77], v[14:15]
	v_fma_f64 v[104:105], v[70:71], v[8:9], -v[0:1]
	global_load_dwordx4 v[8:11], v94, s[12:13] offset:528
	global_load_dwordx4 v[123:126], v94, s[12:13] offset:544
	;; [unrolled: 1-line block ×3, first 2 shown]
	v_mul_u32_u24_sdwa v0, v39, s28 dst_sel:DWORD dst_unused:UNUSED_PAD src0_sel:WORD_0 src1_sel:DWORD
	v_lshrrev_b32_e32 v109, 20, v0
	ds_read_b128 v[64:67], v114 offset:21600
	ds_read_b128 v[135:138], v114 offset:20160
	ds_read_b128 v[68:71], v114 offset:25920
	v_mul_lo_u16_e32 v0, 30, v109
	v_sub_u16_e32 v110, v39, v0
	v_mul_u32_u24_e32 v0, 9, v110
	v_lshlrev_b32_e32 v94, 4, v0
	global_load_dwordx4 v[131:134], v94, s[12:13] offset:432
	s_waitcnt vmcnt(14) lgkmcnt(2)
	v_mul_f64 v[0:1], v[66:67], v[18:19]
	v_mul_f64 v[18:19], v[64:65], v[18:19]
	v_fma_f64 v[191:192], v[76:77], v[12:13], v[84:85]
	v_fma_f64 v[193:194], v[78:79], v[12:13], -v[14:15]
	ds_read_b128 v[12:15], v114 offset:30240
	ds_read_b128 v[139:142], v114 offset:27360
	s_waitcnt vmcnt(13) lgkmcnt(2)
	v_mul_f64 v[76:77], v[70:71], v[22:23]
	global_load_dwordx4 v[143:146], v94, s[12:13] offset:448
	global_load_dwordx4 v[147:150], v94, s[12:13] offset:464
	v_mul_f64 v[22:23], v[68:69], v[22:23]
	v_fma_f64 v[195:196], v[64:65], v[16:17], v[0:1]
	global_load_dwordx4 v[151:154], v94, s[12:13] offset:480
	global_load_dwordx4 v[155:158], v94, s[12:13] offset:496
	v_fma_f64 v[197:198], v[66:67], v[16:17], -v[18:19]
	ds_read_b128 v[159:162], v114 offset:28800
	ds_read_b128 v[16:19], v114 offset:34560
	v_fma_f64 v[199:200], v[68:69], v[20:21], v[76:77]
	v_fma_f64 v[201:202], v[70:71], v[20:21], -v[22:23]
	ds_read_b128 v[20:23], v114 offset:38880
	ds_read_b128 v[163:166], v114 offset:33120
	global_load_dwordx4 v[167:170], v94, s[12:13] offset:512
	global_load_dwordx4 v[171:174], v94, s[12:13] offset:528
	;; [unrolled: 1-line block ×4, first 2 shown]
	s_waitcnt vmcnt(20) lgkmcnt(5)
	v_mul_f64 v[0:1], v[14:15], v[42:43]
	v_mul_f64 v[42:43], v[12:13], v[42:43]
	s_waitcnt vmcnt(19) lgkmcnt(2)
	v_mul_f64 v[64:65], v[18:19], v[46:47]
	v_fma_f64 v[203:204], v[12:13], v[40:41], v[0:1]
	v_fma_f64 v[205:206], v[14:15], v[40:41], -v[42:43]
	ds_read_b128 v[12:15], v114 offset:40320
	ds_read_b128 v[40:43], v114 offset:5760
	v_mul_f64 v[0:1], v[16:17], v[46:47]
	v_fma_f64 v[207:208], v[16:17], v[44:45], v[64:65]
	ds_read_b128 v[66:69], v114 offset:10080
	ds_read_b128 v[183:186], v114 offset:7200
	;; [unrolled: 1-line block ×3, first 2 shown]
	s_waitcnt vmcnt(17) lgkmcnt(3)
	v_mul_f64 v[16:17], v[42:43], v[54:55]
	v_mul_f64 v[46:47], v[22:23], v[50:51]
	;; [unrolled: 1-line block ×4, first 2 shown]
	v_fma_f64 v[209:210], v[18:19], v[44:45], -v[0:1]
	s_waitcnt vmcnt(16) lgkmcnt(2)
	v_mul_f64 v[70:71], v[68:69], v[62:63]
	v_mul_f64 v[78:79], v[66:67], v[62:63]
	v_fma_f64 v[64:65], v[40:41], v[52:53], v[16:17]
	ds_read_b128 v[16:19], v114 offset:14400
	v_fma_f64 v[213:214], v[22:23], v[48:49], -v[50:51]
	v_fma_f64 v[76:77], v[42:43], v[52:53], -v[54:55]
	v_fma_f64 v[211:212], v[20:21], v[48:49], v[46:47]
	v_fma_f64 v[62:63], v[66:67], v[60:61], v[70:71]
	s_waitcnt vmcnt(15) lgkmcnt(0)
	v_mul_f64 v[0:1], v[18:19], v[74:75]
	v_mul_f64 v[48:49], v[16:17], v[74:75]
	s_waitcnt vmcnt(13)
	v_mul_f64 v[70:71], v[141:142], v[92:93]
	ds_read_b128 v[40:43], v114 offset:15840
	ds_read_b128 v[20:23], v114 offset:23040
	v_fma_f64 v[60:61], v[68:69], v[60:61], -v[78:79]
	s_waitcnt vmcnt(12)
	v_mul_f64 v[50:51], v[6:7], v[58:59]
	v_mul_f64 v[52:53], v[4:5], v[58:59]
	v_fma_f64 v[74:75], v[16:17], v[72:73], v[0:1]
	v_mul_f64 v[0:1], v[139:140], v[92:93]
	s_waitcnt lgkmcnt(0)
	v_mul_f64 v[54:55], v[22:23], v[88:89]
	v_mul_f64 v[58:59], v[20:21], v[88:89]
	v_fma_f64 v[84:85], v[18:19], v[72:73], -v[48:49]
	v_fma_f64 v[72:73], v[139:140], v[90:91], v[70:71]
	v_fma_f64 v[68:69], v[4:5], v[56:57], v[50:51]
	v_fma_f64 v[66:67], v[6:7], v[56:57], -v[52:53]
	ds_read_b128 v[4:7], v114 offset:36000
	v_fma_f64 v[70:71], v[141:142], v[90:91], -v[0:1]
	ds_read_b128 v[139:142], v114 offset:37440
	s_waitcnt vmcnt(11)
	v_mul_f64 v[0:1], v[82:83], v[10:11]
	v_mul_f64 v[10:11], v[80:81], v[10:11]
	s_waitcnt vmcnt(10) lgkmcnt(1)
	v_mul_f64 v[16:17], v[6:7], v[125:126]
	v_mul_f64 v[18:19], v[4:5], v[125:126]
	v_fma_f64 v[78:79], v[20:21], v[86:87], v[54:55]
	v_fma_f64 v[86:87], v[22:23], v[86:87], -v[58:59]
	s_waitcnt vmcnt(9)
	v_mul_f64 v[20:21], v[14:15], v[129:130]
	v_mul_f64 v[22:23], v[12:13], v[129:130]
	s_waitcnt vmcnt(8)
	v_mul_f64 v[48:49], v[185:186], v[133:134]
	v_mul_f64 v[50:51], v[183:184], v[133:134]
	v_fma_f64 v[88:89], v[80:81], v[8:9], v[0:1]
	ds_read_b128 v[44:47], v114 offset:24480
	v_fma_f64 v[92:93], v[82:83], v[8:9], -v[10:11]
	v_fma_f64 v[82:83], v[4:5], v[123:124], v[16:17]
	v_fma_f64 v[80:81], v[6:7], v[123:124], -v[18:19]
	s_waitcnt vmcnt(7)
	v_mul_f64 v[0:1], v[189:190], v[145:146]
	v_mul_f64 v[4:5], v[187:188], v[145:146]
	s_waitcnt vmcnt(6)
	v_mul_f64 v[6:7], v[42:43], v[149:150]
	v_fma_f64 v[90:91], v[12:13], v[127:128], v[20:21]
	v_fma_f64 v[94:95], v[14:15], v[127:128], -v[22:23]
	v_fma_f64 v[12:13], v[183:184], v[131:132], v[48:49]
	v_fma_f64 v[16:17], v[185:186], v[131:132], -v[50:51]
	v_mul_f64 v[10:11], v[40:41], v[149:150]
	s_waitcnt vmcnt(5)
	v_mul_f64 v[20:21], v[135:136], v[153:154]
	s_waitcnt vmcnt(4) lgkmcnt(0)
	v_mul_f64 v[48:49], v[46:47], v[157:158]
	v_mul_f64 v[50:51], v[44:45], v[157:158]
	v_fma_f64 v[22:23], v[187:188], v[143:144], v[0:1]
	s_waitcnt vmcnt(3)
	v_mul_f64 v[0:1], v[161:162], v[169:170]
	v_fma_f64 v[8:9], v[189:190], v[143:144], -v[4:5]
	v_fma_f64 v[14:15], v[40:41], v[147:148], v[6:7]
	ds_read_b128 v[4:7], v114 offset:41760
	ds_read_b128 v[123:126], v114
	v_fma_f64 v[40:41], v[42:43], v[147:148], -v[10:11]
	v_fma_f64 v[10:11], v[137:138], v[151:152], -v[20:21]
	v_fma_f64 v[20:21], v[44:45], v[155:156], v[48:49]
	v_fma_f64 v[42:43], v[46:47], v[155:156], -v[50:51]
	s_waitcnt vmcnt(2)
	v_mul_f64 v[48:49], v[165:166], v[173:174]
	v_mul_f64 v[50:51], v[163:164], v[173:174]
	s_waitcnt vmcnt(1)
	v_mul_f64 v[54:55], v[141:142], v[177:178]
	v_mul_f64 v[58:59], v[139:140], v[177:178]
	s_waitcnt vmcnt(0) lgkmcnt(1)
	v_mul_f64 v[127:128], v[6:7], v[181:182]
	v_fma_f64 v[46:47], v[159:160], v[167:168], v[0:1]
	v_mul_f64 v[0:1], v[4:5], v[181:182]
	v_mul_f64 v[18:19], v[137:138], v[153:154]
	v_fma_f64 v[52:53], v[163:164], v[171:172], v[48:49]
	v_fma_f64 v[56:57], v[165:166], v[171:172], -v[50:51]
	v_fma_f64 v[50:51], v[139:140], v[175:176], v[54:55]
	v_fma_f64 v[48:49], v[141:142], v[175:176], -v[58:59]
	v_fma_f64 v[54:55], v[4:5], v[179:180], v[127:128]
	v_add_f64 v[4:5], v[191:192], v[199:200]
	s_waitcnt lgkmcnt(0)
	v_add_f64 v[127:128], v[123:124], v[2:3]
	v_add_f64 v[129:130], v[2:3], v[207:208]
	v_fma_f64 v[58:59], v[6:7], v[179:180], -v[0:1]
	v_add_f64 v[0:1], v[193:194], v[201:202]
	v_add_f64 v[6:7], v[125:126], v[96:97]
	;; [unrolled: 1-line block ×3, first 2 shown]
	v_fma_f64 v[18:19], v[135:136], v[151:152], v[18:19]
	v_fma_f64 v[135:136], v[4:5], -0.5, v[123:124]
	v_add_f64 v[4:5], v[127:128], v[191:192]
	v_fma_f64 v[123:124], v[129:130], -0.5, v[123:124]
	v_add_f64 v[127:128], v[197:198], v[205:206]
	;; [unrolled: 2-line block ×3, first 2 shown]
	v_add_f64 v[6:7], v[131:132], v[195:196]
	v_add_f64 v[133:134], v[102:103], v[104:105]
	;; [unrolled: 1-line block ×4, first 2 shown]
	v_add_f64 v[139:140], v[100:101], -v[211:212]
	v_fma_f64 v[127:128], v[127:128], -0.5, v[102:103]
	v_mul_f64 v[44:45], v[159:160], v[169:170]
	v_add_f64 v[0:1], v[0:1], v[201:202]
	v_add_f64 v[6:7], v[6:7], v[203:204]
	;; [unrolled: 1-line block ×4, first 2 shown]
	v_add_f64 v[141:142], v[104:105], -v[197:198]
	v_add_f64 v[143:144], v[213:214], -v[205:206]
	v_fma_f64 v[137:138], v[137:138], -0.5, v[98:99]
	v_add_f64 v[145:146], v[104:105], -v[213:214]
	v_fma_f64 v[147:148], v[139:140], s[8:9], v[127:128]
	v_add_f64 v[149:150], v[195:196], -v[203:204]
	v_add_f64 v[151:152], v[4:5], v[207:208]
	v_add_f64 v[153:154], v[6:7], v[211:212]
	v_fma_f64 v[44:45], v[161:162], v[167:168], -v[44:45]
	v_add_f64 v[6:7], v[100:101], -v[195:196]
	v_add_f64 v[155:156], v[211:212], -v[203:204]
	v_add_f64 v[141:142], v[141:142], v[143:144]
	v_fma_f64 v[143:144], v[145:146], s[16:17], v[137:138]
	v_add_f64 v[157:158], v[197:198], -v[205:206]
	v_fma_f64 v[147:148], v[149:150], s[14:15], v[147:148]
	v_fma_f64 v[133:134], v[133:134], -0.5, v[125:126]
	v_add_f64 v[125:126], v[0:1], v[209:210]
	v_add_f64 v[4:5], v[151:152], v[153:154]
	v_add_f64 v[159:160], v[2:3], -v[191:192]
	v_add_f64 v[161:162], v[207:208], -v[199:200]
	;; [unrolled: 1-line block ×5, first 2 shown]
	v_add_f64 v[151:152], v[104:105], v[213:214]
	v_add_f64 v[155:156], v[6:7], v[155:156]
	v_fma_f64 v[143:144], v[157:158], s[18:19], v[143:144]
	v_fma_f64 v[147:148], v[141:142], s[20:21], v[147:148]
	v_add_f64 v[159:160], v[159:160], v[161:162]
	v_add_f64 v[131:132], v[131:132], v[205:206]
	;; [unrolled: 1-line block ×4, first 2 shown]
	v_fma_f64 v[102:103], v[151:152], -0.5, v[102:103]
	v_add_f64 v[151:152], v[2:3], -v[207:208]
	v_fma_f64 v[143:144], v[155:156], s[20:21], v[143:144]
	v_mul_f64 v[153:154], v[147:148], s[18:19]
	v_add_f64 v[167:168], v[96:97], -v[209:210]
	v_mul_f64 v[147:148], v[147:148], s[26:27]
	v_add_f64 v[104:105], v[197:198], -v[104:105]
	v_add_f64 v[171:172], v[205:206], -v[213:214]
	v_fma_f64 v[163:164], v[163:164], -0.5, v[98:99]
	v_fma_f64 v[98:99], v[149:150], s[16:17], v[102:103]
	v_fma_f64 v[173:174], v[151:152], s[8:9], v[129:130]
	v_add_f64 v[175:176], v[191:192], -v[199:200]
	v_add_f64 v[131:132], v[131:132], v[213:214]
	v_fma_f64 v[153:154], v[143:144], s[26:27], v[153:154]
	v_fma_f64 v[165:166], v[167:168], s[16:17], v[135:136]
	v_add_f64 v[169:170], v[193:194], -v[201:202]
	v_fma_f64 v[143:144], v[143:144], s[14:15], v[147:148]
	v_add_f64 v[100:101], v[195:196], -v[100:101]
	v_add_f64 v[147:148], v[203:204], -v[211:212]
	v_add_f64 v[104:105], v[104:105], v[171:172]
	v_fma_f64 v[171:172], v[157:158], s[8:9], v[163:164]
	v_fma_f64 v[98:99], v[139:140], s[14:15], v[98:99]
	v_fma_f64 v[173:174], v[175:176], s[14:15], v[173:174]
	v_add_f64 v[2:3], v[191:192], -v[2:3]
	v_add_f64 v[177:178], v[199:200], -v[207:208]
	v_add_f64 v[6:7], v[125:126], v[131:132]
	v_fma_f64 v[165:166], v[169:170], s[18:19], v[165:166]
	v_add_f64 v[147:148], v[100:101], v[147:148]
	v_fma_f64 v[100:101], v[145:146], s[18:19], v[171:172]
	v_fma_f64 v[98:99], v[104:105], s[20:21], v[98:99]
	;; [unrolled: 1-line block ×4, first 2 shown]
	v_add_f64 v[177:178], v[2:3], v[177:178]
	v_add_f64 v[2:3], v[125:126], -v[131:132]
	v_fma_f64 v[125:126], v[149:150], s[8:9], v[102:103]
	v_add_f64 v[96:97], v[193:194], -v[96:97]
	v_add_f64 v[171:172], v[201:202], -v[209:210]
	v_fma_f64 v[165:166], v[159:160], s[20:21], v[165:166]
	v_fma_f64 v[100:101], v[147:148], s[20:21], v[100:101]
	v_mul_f64 v[183:184], v[98:99], s[16:17]
	v_mul_f64 v[185:186], v[98:99], s[20:21]
	v_add_f64 v[98:99], v[173:174], v[143:144]
	v_add_f64 v[102:103], v[173:174], -v[143:144]
	v_fma_f64 v[143:144], v[157:158], s[16:17], v[163:164]
	v_fma_f64 v[139:140], v[139:140], s[18:19], v[125:126]
	;; [unrolled: 1-line block ×6, first 2 shown]
	v_add_f64 v[171:172], v[96:97], v[171:172]
	v_add_f64 v[96:97], v[165:166], v[153:154]
	v_fma_f64 v[131:132], v[100:101], s[20:21], v[183:184]
	v_fma_f64 v[183:184], v[100:101], s[8:9], v[185:186]
	v_add_f64 v[100:101], v[165:166], -v[153:154]
	v_fma_f64 v[153:154], v[169:170], s[16:17], v[123:124]
	v_fma_f64 v[133:134], v[175:176], s[8:9], v[133:134]
	;; [unrolled: 1-line block ×13, first 2 shown]
	v_mul_f64 v[143:144], v[104:105], s[16:17]
	v_mul_f64 v[104:105], v[104:105], s[22:23]
	v_fma_f64 v[135:136], v[169:170], s[14:15], v[135:136]
	v_fma_f64 v[129:130], v[175:176], s[18:19], v[129:130]
	;; [unrolled: 1-line block ×3, first 2 shown]
	v_mul_f64 v[145:146], v[127:128], s[18:19]
	v_mul_f64 v[127:128], v[127:128], s[24:25]
	v_fma_f64 v[179:180], v[177:178], s[20:21], v[179:180]
	v_fma_f64 v[181:182], v[171:172], s[20:21], v[181:182]
	v_fma_f64 v[139:140], v[177:178], s[20:21], v[139:140]
	v_fma_f64 v[147:148], v[171:172], s[20:21], v[133:134]
	v_fma_f64 v[143:144], v[141:142], s[22:23], v[143:144]
	v_fma_f64 v[104:105], v[141:142], s[8:9], v[104:105]
	v_fma_f64 v[149:150], v[159:160], s[20:21], v[135:136]
	v_fma_f64 v[151:152], v[161:162], s[20:21], v[129:130]
	v_fma_f64 v[145:146], v[137:138], s[24:25], v[145:146]
	v_fma_f64 v[153:154], v[137:138], s[14:15], v[127:128]
	v_add_f64 v[123:124], v[179:180], v[131:132]
	v_add_f64 v[125:126], v[181:182], v[183:184]
	v_add_f64 v[127:128], v[179:180], -v[131:132]
	v_add_f64 v[131:132], v[139:140], v[143:144]
	v_add_f64 v[133:134], v[147:148], v[104:105]
	v_add_f64 v[135:136], v[139:140], -v[143:144]
	v_add_f64 v[137:138], v[147:148], -v[104:105]
	v_add_f64 v[139:140], v[149:150], v[145:146]
	v_add_f64 v[141:142], v[151:152], v[153:154]
	v_add_f64 v[143:144], v[149:150], -v[145:146]
	v_add_f64 v[145:146], v[151:152], -v[153:154]
	ds_read_b128 v[147:150], v107
	ds_read_b128 v[151:154], v106
	v_mul_u32_u24_e32 v104, 0x12c0, v113
	v_lshlrev_b32_sdwa v105, v108, v122 dst_sel:DWORD dst_unused:UNUSED_PAD src0_sel:DWORD src1_sel:BYTE_0
	v_add_f64 v[129:130], v[181:182], -v[183:184]
	v_add3_u32 v104, 0, v104, v105
	s_waitcnt lgkmcnt(0)
	s_barrier
	ds_write_b128 v104, v[4:7]
	ds_write_b128 v104, v[96:99] offset:480
	ds_write_b128 v104, v[123:126] offset:960
	;; [unrolled: 1-line block ×8, first 2 shown]
	v_add_f64 v[0:1], v[68:69], v[72:73]
	v_add_f64 v[2:3], v[147:148], v[62:63]
	v_add_f64 v[4:5], v[62:63], v[82:83]
	v_add_f64 v[6:7], v[66:67], v[70:71]
	v_add_f64 v[96:97], v[149:150], v[60:61]
	v_add_f64 v[98:99], v[64:65], v[74:75]
	ds_write_b128 v104, v[143:146] offset:4320
	v_add_f64 v[100:101], v[76:77], v[84:85]
	v_fma_f64 v[102:103], v[0:1], -0.5, v[147:148]
	v_add_f64 v[0:1], v[2:3], v[68:69]
	v_fma_f64 v[104:105], v[4:5], -0.5, v[147:148]
	;; [unrolled: 2-line block ×3, first 2 shown]
	v_add_f64 v[4:5], v[96:97], v[66:67]
	v_add_f64 v[6:7], v[98:99], v[78:79]
	;; [unrolled: 1-line block ×5, first 2 shown]
	v_add_f64 v[125:126], v[74:75], -v[90:91]
	v_fma_f64 v[123:124], v[2:3], -0.5, v[76:77]
	v_add_f64 v[98:99], v[60:61], v[80:81]
	v_add_f64 v[2:3], v[4:5], v[70:71]
	;; [unrolled: 1-line block ×3, first 2 shown]
	v_add_f64 v[137:138], v[74:75], -v[78:79]
	v_add_f64 v[139:140], v[90:91], -v[88:89]
	v_add_f64 v[135:136], v[0:1], v[82:83]
	v_add_f64 v[6:7], v[96:97], v[92:93]
	v_add_f64 v[96:97], v[84:85], -v[86:87]
	v_add_f64 v[127:128], v[94:95], -v[92:93]
	v_fma_f64 v[100:101], v[100:101], -0.5, v[64:65]
	v_add_f64 v[4:5], v[4:5], v[90:91]
	v_add_f64 v[129:130], v[84:85], -v[94:95]
	v_fma_f64 v[131:132], v[125:126], s[8:9], v[123:124]
	v_add_f64 v[133:134], v[78:79], -v[88:89]
	v_fma_f64 v[98:99], v[98:99], -0.5, v[149:150]
	v_add_f64 v[145:146], v[62:63], -v[68:69]
	v_add_f64 v[137:138], v[137:138], v[139:140]
	v_add_f64 v[139:140], v[82:83], -v[72:73]
	v_add_f64 v[0:1], v[135:136], v[4:5]
	v_add_f64 v[147:148], v[60:61], -v[66:67]
	v_add_f64 v[149:150], v[80:81], -v[70:71]
	v_add_f64 v[4:5], v[135:136], -v[4:5]
	v_add_f64 v[135:136], v[84:85], v[94:95]
	v_add_f64 v[96:97], v[96:97], v[127:128]
	v_fma_f64 v[127:128], v[129:130], s[16:17], v[100:101]
	v_add_f64 v[141:142], v[86:87], -v[92:93]
	v_fma_f64 v[131:132], v[133:134], s[14:15], v[131:132]
	v_add_f64 v[139:140], v[145:146], v[139:140]
	v_add_f64 v[145:146], v[147:148], v[149:150]
	;; [unrolled: 1-line block ×3, first 2 shown]
	v_fma_f64 v[76:77], v[135:136], -0.5, v[76:77]
	v_add_f64 v[84:85], v[86:87], -v[84:85]
	v_add_f64 v[86:87], v[92:93], -v[94:95]
	v_fma_f64 v[127:128], v[141:142], s[18:19], v[127:128]
	v_fma_f64 v[131:132], v[96:97], s[20:21], v[131:132]
	v_add_f64 v[157:158], v[60:61], -v[80:81]
	v_add_f64 v[135:136], v[62:63], -v[82:83]
	v_fma_f64 v[92:93], v[147:148], -0.5, v[64:65]
	v_fma_f64 v[64:65], v[133:134], s[16:17], v[76:77]
	v_add_f64 v[74:75], v[78:79], -v[74:75]
	v_add_f64 v[78:79], v[88:89], -v[90:91]
	v_fma_f64 v[127:128], v[137:138], s[20:21], v[127:128]
	v_mul_f64 v[155:156], v[131:132], s[18:19]
	v_add_f64 v[84:85], v[84:85], v[86:87]
	v_add_f64 v[159:160], v[66:67], -v[70:71]
	v_fma_f64 v[86:87], v[141:142], s[8:9], v[92:93]
	v_fma_f64 v[64:65], v[125:126], s[14:15], v[64:65]
	v_add_f64 v[6:7], v[6:7], v[94:95]
	v_fma_f64 v[94:95], v[135:136], s[8:9], v[121:122]
	v_add_f64 v[147:148], v[68:69], -v[72:73]
	v_fma_f64 v[149:150], v[127:128], s[26:27], v[155:156]
	v_fma_f64 v[155:156], v[157:158], s[16:17], v[102:103]
	v_add_f64 v[62:63], v[68:69], -v[62:63]
	v_add_f64 v[68:69], v[72:73], -v[82:83]
	;; [unrolled: 1-line block ×3, first 2 shown]
	v_add_f64 v[72:73], v[74:75], v[78:79]
	v_fma_f64 v[66:67], v[129:130], s[18:19], v[86:87]
	v_fma_f64 v[64:65], v[84:85], s[20:21], v[64:65]
	v_add_f64 v[143:144], v[2:3], v[80:81]
	v_fma_f64 v[88:89], v[159:160], s[18:19], v[155:156]
	v_mul_f64 v[131:132], v[131:132], s[26:27]
	v_fma_f64 v[90:91], v[147:148], s[14:15], v[94:95]
	v_add_f64 v[70:71], v[70:71], -v[80:81]
	v_fma_f64 v[78:79], v[159:160], s[8:9], v[104:105]
	v_fma_f64 v[80:81], v[147:148], s[16:17], v[98:99]
	v_add_f64 v[86:87], v[62:63], v[68:69]
	v_fma_f64 v[66:67], v[72:73], s[20:21], v[66:67]
	v_mul_f64 v[68:69], v[64:65], s[16:17]
	v_fma_f64 v[74:75], v[139:140], s[20:21], v[88:89]
	v_mul_f64 v[64:65], v[64:65], s[20:21]
	v_fma_f64 v[127:128], v[127:128], s[14:15], v[131:132]
	v_fma_f64 v[82:83], v[145:146], s[20:21], v[90:91]
	v_add_f64 v[88:89], v[60:61], v[70:71]
	v_fma_f64 v[70:71], v[157:158], s[18:19], v[78:79]
	v_fma_f64 v[78:79], v[135:136], s[14:15], v[80:81]
	;; [unrolled: 1-line block ×4, first 2 shown]
	v_add_f64 v[60:61], v[74:75], v[149:150]
	v_fma_f64 v[76:77], v[66:67], s[8:9], v[64:65]
	v_add_f64 v[64:65], v[74:75], -v[149:150]
	v_fma_f64 v[74:75], v[125:126], s[16:17], v[123:124]
	v_add_f64 v[62:63], v[82:83], v[127:128]
	v_add_f64 v[66:67], v[82:83], -v[127:128]
	v_fma_f64 v[82:83], v[141:142], s[16:17], v[92:93]
	v_fma_f64 v[92:93], v[125:126], s[18:19], v[68:69]
	;; [unrolled: 1-line block ×17, first 2 shown]
	v_mul_f64 v[82:83], v[84:85], s[16:17]
	v_mul_f64 v[84:85], v[84:85], s[22:23]
	v_fma_f64 v[94:95], v[159:160], s[14:15], v[94:95]
	v_fma_f64 v[98:99], v[147:148], s[18:19], v[102:103]
	;; [unrolled: 1-line block ×3, first 2 shown]
	v_mul_f64 v[102:103], v[74:75], s[18:19]
	v_mul_f64 v[74:75], v[74:75], s[24:25]
	v_fma_f64 v[86:87], v[86:87], s[20:21], v[92:93]
	v_fma_f64 v[88:89], v[88:89], s[20:21], v[96:97]
	;; [unrolled: 1-line block ×8, first 2 shown]
	v_add_f64 v[2:3], v[143:144], v[6:7]
	v_add_f64 v[68:69], v[90:91], v[80:81]
	;; [unrolled: 1-line block ×3, first 2 shown]
	v_add_f64 v[74:75], v[78:79], -v[76:77]
	v_add_f64 v[76:77], v[86:87], v[82:83]
	v_add_f64 v[78:79], v[88:89], v[84:85]
	v_add_f64 v[72:73], v[90:91], -v[80:81]
	v_add_f64 v[80:81], v[86:87], -v[82:83]
	;; [unrolled: 1-line block ×3, first 2 shown]
	v_add_f64 v[84:85], v[92:93], v[96:97]
	v_add_f64 v[86:87], v[94:95], v[98:99]
	v_add_f64 v[6:7], v[143:144], -v[6:7]
	v_add_f64 v[88:89], v[92:93], -v[96:97]
	v_lshlrev_b32_sdwa v92, v108, v112 dst_sel:DWORD dst_unused:UNUSED_PAD src0_sel:DWORD src1_sel:BYTE_0
	v_mul_u32_u24_e32 v93, 0x12c0, v111
	v_add3_u32 v92, 0, v93, v92
	ds_write_b128 v92, v[0:3]
	ds_write_b128 v92, v[60:63] offset:480
	ds_write_b128 v92, v[68:71] offset:960
	;; [unrolled: 1-line block ×6, first 2 shown]
	v_add_f64 v[4:5], v[10:11], v[44:45]
	v_add_f64 v[6:7], v[151:152], v[22:23]
	;; [unrolled: 1-line block ×4, first 2 shown]
	v_add_f64 v[68:69], v[14:15], -v[54:55]
	ds_write_b128 v92, v[72:75] offset:3360
	v_add_f64 v[2:3], v[22:23], v[50:51]
	ds_write_b128 v92, v[80:83] offset:3840
	v_fma_f64 v[66:67], v[4:5], -0.5, v[153:154]
	v_add_f64 v[4:5], v[6:7], v[18:19]
	v_add_f64 v[6:7], v[20:21], v[52:53]
	v_fma_f64 v[60:61], v[60:61], -0.5, v[16:17]
	v_fma_f64 v[62:63], v[0:1], -0.5, v[151:152]
	v_add_f64 v[0:1], v[153:154], v[8:9]
	v_add_f64 v[70:71], v[12:13], v[14:15]
	;; [unrolled: 1-line block ×3, first 2 shown]
	v_add_f64 v[74:75], v[40:41], -v[42:43]
	v_add_f64 v[76:77], v[58:59], -v[56:57]
	v_fma_f64 v[78:79], v[6:7], -0.5, v[12:13]
	v_fma_f64 v[6:7], v[68:69], s[8:9], v[60:61]
	v_add_f64 v[82:83], v[20:21], -v[52:53]
	v_add_f64 v[90:91], v[94:95], -v[98:99]
	v_fma_f64 v[64:65], v[2:3], -0.5, v[151:152]
	v_add_f64 v[2:3], v[8:9], v[48:49]
	v_add_f64 v[0:1], v[0:1], v[10:11]
	;; [unrolled: 1-line block ×4, first 2 shown]
	v_add_f64 v[84:85], v[14:15], -v[20:21]
	v_add_f64 v[86:87], v[54:55], -v[52:53]
	v_add_f64 v[74:75], v[74:75], v[76:77]
	v_fma_f64 v[6:7], v[82:83], s[14:15], v[6:7]
	ds_write_b128 v92, v[88:91] offset:4320
	v_fma_f64 v[90:91], v[2:3], -0.5, v[153:154]
	v_add_f64 v[0:1], v[0:1], v[44:45]
	v_add_f64 v[2:3], v[70:71], v[52:53]
	;; [unrolled: 1-line block ×4, first 2 shown]
	v_add_f64 v[84:85], v[22:23], -v[18:19]
	v_fma_f64 v[6:7], v[74:75], s[20:21], v[6:7]
	v_add_f64 v[86:87], v[50:51], -v[46:47]
	v_add_f64 v[80:81], v[40:41], -v[58:59]
	v_add_f64 v[92:93], v[0:1], v[48:49]
	v_add_f64 v[0:1], v[8:9], -v[10:11]
	v_add_f64 v[94:95], v[48:49], -v[44:45]
	v_add_f64 v[98:99], v[2:3], v[54:55]
	v_add_f64 v[88:89], v[42:43], -v[56:57]
	v_mul_f64 v[96:97], v[6:7], s[18:19]
	v_mul_f64 v[2:3], v[6:7], s[26:27]
	v_add_f64 v[84:85], v[84:85], v[86:87]
	v_add_f64 v[6:7], v[40:41], v[58:59]
	v_add_f64 v[86:87], v[8:9], -v[48:49]
	v_fma_f64 v[76:77], v[80:81], s[16:17], v[78:79]
	v_add_f64 v[94:95], v[0:1], v[94:95]
	v_add_f64 v[100:101], v[22:23], -v[50:51]
	v_add_f64 v[0:1], v[14:15], v[54:55]
	v_add_f64 v[40:41], v[42:43], -v[40:41]
	v_add_f64 v[42:43], v[10:11], -v[44:45]
	v_fma_f64 v[16:17], v[6:7], -0.5, v[16:17]
	v_fma_f64 v[6:7], v[86:87], s[16:17], v[62:63]
	v_add_f64 v[4:5], v[4:5], v[46:47]
	v_fma_f64 v[76:77], v[88:89], s[18:19], v[76:77]
	v_add_f64 v[70:71], v[70:71], v[58:59]
	v_add_f64 v[56:57], v[56:57], -v[58:59]
	v_fma_f64 v[58:59], v[100:101], s[8:9], v[66:67]
	v_add_f64 v[22:23], v[18:19], -v[22:23]
	v_fma_f64 v[102:103], v[0:1], -0.5, v[12:13]
	v_add_f64 v[104:105], v[18:19], -v[46:47]
	v_add_f64 v[14:15], v[20:21], -v[14:15]
	;; [unrolled: 1-line block ×3, first 2 shown]
	v_fma_f64 v[6:7], v[42:43], s[18:19], v[6:7]
	v_add_f64 v[4:5], v[4:5], v[50:51]
	v_fma_f64 v[76:77], v[72:73], s[20:21], v[76:77]
	v_add_f64 v[20:21], v[40:41], v[56:57]
	v_fma_f64 v[40:41], v[88:89], s[8:9], v[102:103]
	v_fma_f64 v[52:53], v[104:105], s[14:15], v[58:59]
	v_add_f64 v[46:47], v[46:47], -v[50:51]
	v_add_f64 v[8:9], v[10:11], -v[8:9]
	v_add_f64 v[50:51], v[14:15], v[18:19]
	v_add_f64 v[14:15], v[44:45], -v[48:49]
	v_fma_f64 v[18:19], v[84:85], s[20:21], v[6:7]
	v_fma_f64 v[6:7], v[42:43], s[8:9], v[64:65]
	;; [unrolled: 1-line block ×7, first 2 shown]
	v_add_f64 v[22:23], v[22:23], v[46:47]
	v_add_f64 v[52:53], v[8:9], v[14:15]
	v_fma_f64 v[14:15], v[86:87], s[18:19], v[6:7]
	v_fma_f64 v[16:17], v[82:83], s[8:9], v[16:17]
	;; [unrolled: 1-line block ×5, first 2 shown]
	v_add_f64 v[10:11], v[44:45], v[76:77]
	v_fma_f64 v[60:61], v[42:43], s[16:17], v[64:65]
	v_fma_f64 v[64:65], v[80:81], s[8:9], v[78:79]
	;; [unrolled: 1-line block ×3, first 2 shown]
	v_add_f64 v[14:15], v[44:45], -v[76:77]
	v_fma_f64 v[44:45], v[88:89], s[16:17], v[102:103]
	v_fma_f64 v[58:59], v[68:69], s[18:19], v[16:17]
	;; [unrolled: 1-line block ×7, first 2 shown]
	v_add_f64 v[0:1], v[4:5], v[98:99]
	v_fma_f64 v[44:45], v[80:81], s[14:15], v[44:45]
	v_fma_f64 v[20:21], v[20:21], s[20:21], v[58:59]
	v_fma_f64 v[58:59], v[86:87], s[14:15], v[60:61]
	v_fma_f64 v[60:61], v[86:87], s[8:9], v[62:63]
	v_fma_f64 v[62:63], v[100:101], s[16:17], v[66:67]
	v_fma_f64 v[56:57], v[74:75], s[20:21], v[56:57]
	v_mul_f64 v[48:49], v[12:13], s[16:17]
	v_mul_f64 v[12:13], v[12:13], s[20:21]
	v_fma_f64 v[40:41], v[100:101], s[14:15], v[40:41]
	v_fma_f64 v[66:67], v[100:101], s[18:19], v[68:69]
	v_fma_f64 v[44:45], v[50:51], s[20:21], v[44:45]
	v_mul_f64 v[50:51], v[20:21], s[16:17]
	v_mul_f64 v[20:21], v[20:21], s[22:23]
	v_fma_f64 v[42:43], v[42:43], s[14:15], v[60:61]
	v_fma_f64 v[60:61], v[104:105], s[18:19], v[62:63]
	v_fma_f64 v[62:63], v[72:73], s[20:21], v[64:65]
	;; [unrolled: 5-line block ×3, first 2 shown]
	v_fma_f64 v[58:59], v[22:23], s[20:21], v[58:59]
	v_fma_f64 v[52:53], v[52:53], s[20:21], v[66:67]
	;; [unrolled: 1-line block ×8, first 2 shown]
	v_add_f64 v[2:3], v[92:93], v[70:71]
	v_add_f64 v[8:9], v[18:19], v[96:97]
	v_add_f64 v[12:13], v[18:19], -v[96:97]
	v_add_f64 v[16:17], v[54:55], v[48:49]
	v_add_f64 v[18:19], v[40:41], v[46:47]
	v_add_f64 v[22:23], v[40:41], -v[46:47]
	;; [unrolled: 3-line block ×3, first 2 shown]
	v_add_f64 v[44:45], v[58:59], -v[50:51]
	v_add_f64 v[48:49], v[68:69], v[64:65]
	v_add_f64 v[50:51], v[60:61], v[56:57]
	v_add_f64 v[4:5], v[4:5], -v[98:99]
	v_add_f64 v[6:7], v[92:93], -v[70:71]
	;; [unrolled: 1-line block ×3, first 2 shown]
	v_mul_u32_u24_e32 v56, 0x12c0, v109
	v_lshlrev_b32_e32 v57, 4, v110
	v_add3_u32 v56, 0, v56, v57
	v_add_f64 v[46:47], v[52:53], -v[66:67]
	v_add_f64 v[52:53], v[68:69], -v[64:65]
	ds_write_b128 v56, v[0:3]
	ds_write_b128 v56, v[8:11] offset:480
	ds_write_b128 v56, v[16:19] offset:960
	;; [unrolled: 1-line block ×9, first 2 shown]
	v_lshlrev_b32_e32 v40, 1, v24
	v_mov_b32_e32 v41, 0
	v_lshlrev_b64 v[0:1], 4, v[40:41]
	v_mov_b32_e32 v46, s13
	v_add_co_u32_e32 v47, vcc, s12, v0
	v_addc_co_u32_e32 v48, vcc, v46, v1, vcc
	s_movk_i32 s8, 0x1290
	v_add_co_u32_e32 v0, vcc, s8, v47
	v_addc_co_u32_e32 v1, vcc, 0, v48, vcc
	s_movk_i32 s9, 0x1000
	v_add_co_u32_e32 v2, vcc, s9, v47
	v_addc_co_u32_e32 v3, vcc, 0, v48, vcc
	s_waitcnt lgkmcnt(0)
	s_barrier
	global_load_dwordx4 v[54:57], v[2:3], off offset:656
	global_load_dwordx4 v[20:23], v[0:1], off offset:16
	v_lshlrev_b32_e32 v0, 1, v28
	v_mov_b32_e32 v1, v41
	v_lshlrev_b64 v[0:1], 4, v[0:1]
	v_lshlrev_b32_e32 v4, 1, v39
	v_add_co_u32_e32 v49, vcc, s12, v0
	v_addc_co_u32_e32 v50, vcc, v46, v1, vcc
	v_add_co_u32_e32 v0, vcc, s9, v49
	v_addc_co_u32_e32 v1, vcc, 0, v50, vcc
	global_load_dwordx4 v[58:61], v[0:1], off offset:656
	v_mov_b32_e32 v5, v41
	v_add_co_u32_e32 v0, vcc, s8, v49
	v_lshlrev_b64 v[4:5], 4, v[4:5]
	v_addc_co_u32_e32 v1, vcc, 0, v50, vcc
	v_add_co_u32_e32 v51, vcc, s12, v4
	v_addc_co_u32_e32 v52, vcc, v46, v5, vcc
	v_add_co_u32_e32 v12, vcc, s8, v51
	;; [unrolled: 2-line block ×3, first 2 shown]
	v_addc_co_u32_e32 v15, vcc, 0, v52, vcc
	global_load_dwordx4 v[0:3], v[0:1], off offset:16
	s_nop 0
	global_load_dwordx4 v[4:7], v[14:15], off offset:656
	global_load_dwordx4 v[8:11], v[12:13], off offset:16
	v_subrev_u32_e32 v12, 30, v24
	v_cmp_gt_u32_e32 vcc, 30, v24
	v_cndmask_b32_e32 v53, v12, v38, vcc
	v_lshlrev_b32_e32 v12, 1, v53
	v_mov_b32_e32 v13, v41
	v_lshlrev_b64 v[12:13], 4, v[12:13]
	v_add_co_u32_e32 v12, vcc, s12, v12
	v_addc_co_u32_e32 v13, vcc, v46, v13, vcc
	v_add_co_u32_e32 v42, vcc, s9, v12
	v_addc_co_u32_e32 v43, vcc, 0, v13, vcc
	v_add_co_u32_e32 v44, vcc, s8, v12
	v_addc_co_u32_e32 v45, vcc, 0, v13, vcc
	global_load_dwordx4 v[12:15], v[42:43], off offset:656
	global_load_dwordx4 v[16:19], v[44:45], off offset:16
	v_add_u32_e32 v42, 0x78, v40
	v_mov_b32_e32 v43, v41
	v_lshlrev_b64 v[42:43], 4, v[42:43]
	ds_read_b128 v[62:65], v114 offset:15840
	v_add_co_u32_e32 v66, vcc, s12, v42
	v_addc_co_u32_e32 v67, vcc, v46, v43, vcc
	ds_read_b128 v[42:45], v114 offset:14400
	v_add_co_u32_e32 v78, vcc, s9, v66
	v_addc_co_u32_e32 v79, vcc, 0, v67, vcc
	v_add_co_u32_e32 v80, vcc, s8, v66
	v_addc_co_u32_e32 v81, vcc, 0, v67, vcc
	ds_read_b128 v[66:69], v114 offset:28800
	v_add_u32_e32 v40, 0x12c, v40
	global_load_dwordx4 v[70:73], v[78:79], off offset:656
	global_load_dwordx4 v[74:77], v[80:81], off offset:16
	ds_read_b128 v[78:81], v114 offset:30240
	s_waitcnt vmcnt(9) lgkmcnt(2)
	v_mul_f64 v[82:83], v[44:45], v[56:57]
	v_mul_f64 v[56:57], v[42:43], v[56:57]
	s_waitcnt vmcnt(8) lgkmcnt(1)
	v_mul_f64 v[84:85], v[68:69], v[22:23]
	v_mul_f64 v[112:113], v[66:67], v[22:23]
	v_fma_f64 v[42:43], v[42:43], v[54:55], v[82:83]
	v_fma_f64 v[44:45], v[44:45], v[54:55], -v[56:57]
	v_lshlrev_b64 v[54:55], 4, v[40:41]
	v_fma_f64 v[22:23], v[66:67], v[20:21], v[84:85]
	v_add_co_u32_e32 v40, vcc, s12, v54
	v_addc_co_u32_e32 v57, vcc, v46, v55, vcc
	v_add_co_u32_e32 v54, vcc, s9, v40
	v_addc_co_u32_e32 v55, vcc, 0, v57, vcc
	v_add_co_u32_e32 v56, vcc, s8, v40
	v_lshrrev_b16_e32 v40, 2, v35
	v_mul_u32_u24_e32 v40, 0x6d3b, v40
	v_lshrrev_b32_e32 v40, 21, v40
	v_addc_co_u32_e32 v57, vcc, 0, v57, vcc
	global_load_dwordx4 v[82:85], v[54:55], off offset:656
	global_load_dwordx4 v[86:89], v[56:57], off offset:16
	v_mul_lo_u16_e32 v54, 0x12c, v40
	v_sub_u16_e32 v54, v35, v54
	v_lshlrev_b32_e32 v55, 5, v54
	v_add_co_u32_e32 v57, vcc, s12, v55
	s_waitcnt vmcnt(9)
	v_mul_f64 v[141:142], v[64:65], v[60:61]
	v_mul_f64 v[143:144], v[62:63], v[60:61]
	v_addc_co_u32_e32 v61, vcc, 0, v46, vcc
	v_add_co_u32_e32 v55, vcc, s9, v57
	v_addc_co_u32_e32 v56, vcc, 0, v61, vcc
	v_add_co_u32_e32 v60, vcc, s8, v57
	v_addc_co_u32_e32 v61, vcc, 0, v61, vcc
	global_load_dwordx4 v[90:93], v[55:56], off offset:656
	global_load_dwordx4 v[94:97], v[60:61], off offset:16
	v_lshrrev_b16_e32 v55, 2, v34
	v_mul_u32_u24_e32 v55, 0x6d3b, v55
	v_lshrrev_b32_e32 v55, 21, v55
	v_mul_lo_u16_e32 v55, 0x12c, v55
	v_sub_u16_e32 v55, v34, v55
	v_lshlrev_b32_e32 v56, 5, v55
	v_add_co_u32_e32 v60, vcc, s12, v56
	v_addc_co_u32_e32 v61, vcc, 0, v46, vcc
	v_add_co_u32_e32 v56, vcc, s9, v60
	v_addc_co_u32_e32 v57, vcc, 0, v61, vcc
	v_add_co_u32_e32 v60, vcc, s8, v60
	v_addc_co_u32_e32 v61, vcc, 0, v61, vcc
	global_load_dwordx4 v[98:101], v[56:57], off offset:656
	global_load_dwordx4 v[102:105], v[60:61], off offset:16
	v_lshrrev_b16_e32 v56, 2, v33
	v_mul_u32_u24_e32 v56, 0x6d3b, v56
	v_lshrrev_b32_e32 v56, 21, v56
	v_mul_lo_u16_e32 v56, 0x12c, v56
	v_sub_u16_e32 v56, v33, v56
	v_lshlrev_b32_e32 v57, 5, v56
	v_add_co_u32_e32 v57, vcc, s12, v57
	v_addc_co_u32_e32 v67, vcc, 0, v46, vcc
	v_add_co_u32_e32 v60, vcc, s9, v57
	v_addc_co_u32_e32 v61, vcc, 0, v67, vcc
	v_add_co_u32_e32 v66, vcc, s8, v57
	v_lshrrev_b16_e32 v57, 2, v32
	v_mul_u32_u24_e32 v57, 0x6d3b, v57
	v_lshrrev_b32_e32 v57, 21, v57
	v_mul_lo_u16_e32 v57, 0x12c, v57
	v_sub_u16_e32 v57, v32, v57
	v_addc_co_u32_e32 v67, vcc, 0, v67, vcc
	global_load_dwordx4 v[108:111], v[60:61], off offset:656
	global_load_dwordx4 v[121:124], v[66:67], off offset:16
	v_lshlrev_b32_e32 v60, 5, v57
	v_add_co_u32_e32 v66, vcc, s12, v60
	v_addc_co_u32_e32 v67, vcc, 0, v46, vcc
	v_add_co_u32_e32 v60, vcc, s9, v66
	v_addc_co_u32_e32 v61, vcc, 0, v67, vcc
	global_load_dwordx4 v[125:128], v[60:61], off offset:656
	v_add_co_u32_e32 v60, vcc, s8, v66
	v_addc_co_u32_e32 v61, vcc, 0, v67, vcc
	ds_read_b128 v[129:132], v114 offset:17280
	ds_read_b128 v[133:136], v114 offset:18720
	global_load_dwordx4 v[137:140], v[60:61], off offset:16
	s_waitcnt vmcnt(16) lgkmcnt(2)
	v_mul_f64 v[145:146], v[80:81], v[2:3]
	v_mul_f64 v[2:3], v[78:79], v[2:3]
	v_fma_f64 v[141:142], v[62:63], v[58:59], v[141:142]
	ds_read_b128 v[60:63], v114 offset:31680
	s_waitcnt vmcnt(15) lgkmcnt(2)
	v_mul_f64 v[147:148], v[131:132], v[6:7]
	v_fma_f64 v[112:113], v[68:69], v[20:21], -v[112:113]
	v_mul_f64 v[6:7], v[129:130], v[6:7]
	v_fma_f64 v[143:144], v[64:65], v[58:59], -v[143:144]
	v_fma_f64 v[78:79], v[78:79], v[0:1], v[145:146]
	v_fma_f64 v[80:81], v[80:81], v[0:1], -v[2:3]
	ds_read_b128 v[0:3], v114 offset:33120
	s_waitcnt vmcnt(14) lgkmcnt(1)
	v_mul_f64 v[20:21], v[62:63], v[10:11]
	v_mul_f64 v[10:11], v[60:61], v[10:11]
	ds_read_b128 v[64:67], v117
	v_fma_f64 v[129:130], v[129:130], v[4:5], v[147:148]
	v_fma_f64 v[131:132], v[131:132], v[4:5], -v[6:7]
	s_waitcnt vmcnt(12) lgkmcnt(1)
	v_mul_f64 v[68:69], v[0:1], v[18:19]
	v_mul_f64 v[58:59], v[135:136], v[14:15]
	;; [unrolled: 1-line block ×3, first 2 shown]
	v_fma_f64 v[145:146], v[60:61], v[8:9], v[20:21]
	v_fma_f64 v[62:63], v[62:63], v[8:9], -v[10:11]
	ds_read_b128 v[4:7], v114 offset:20160
	ds_read_b128 v[8:11], v114 offset:34560
	v_mul_f64 v[60:61], v[2:3], v[18:19]
	ds_read_b128 v[18:21], v114 offset:21600
	v_fma_f64 v[153:154], v[2:3], v[16:17], -v[68:69]
	s_waitcnt vmcnt(11) lgkmcnt(2)
	v_mul_f64 v[147:148], v[6:7], v[72:73]
	v_mul_f64 v[72:73], v[4:5], v[72:73]
	s_waitcnt vmcnt(10) lgkmcnt(1)
	v_mul_f64 v[149:150], v[10:11], v[76:77]
	v_mul_f64 v[76:77], v[8:9], v[76:77]
	v_fma_f64 v[133:134], v[133:134], v[12:13], v[58:59]
	v_fma_f64 v[151:152], v[0:1], v[16:17], v[60:61]
	ds_read_b128 v[0:3], v114 offset:36000
	s_waitcnt vmcnt(9) lgkmcnt(1)
	v_mul_f64 v[58:59], v[18:19], v[84:85]
	v_fma_f64 v[147:148], v[4:5], v[70:71], v[147:148]
	v_fma_f64 v[155:156], v[6:7], v[70:71], -v[72:73]
	v_fma_f64 v[149:150], v[8:9], v[74:75], v[149:150]
	v_fma_f64 v[157:158], v[10:11], v[74:75], -v[76:77]
	ds_read_b128 v[4:7], v114 offset:23040
	ds_read_b128 v[8:11], v114 offset:37440
	s_waitcnt vmcnt(8) lgkmcnt(2)
	v_mul_f64 v[60:61], v[2:3], v[88:89]
	v_mul_f64 v[68:69], v[0:1], v[88:89]
	v_fma_f64 v[135:136], v[135:136], v[12:13], -v[14:15]
	s_waitcnt vmcnt(7) lgkmcnt(1)
	v_mul_f64 v[70:71], v[6:7], v[92:93]
	v_mul_f64 v[72:73], v[4:5], v[92:93]
	s_waitcnt vmcnt(6) lgkmcnt(0)
	v_mul_f64 v[74:75], v[10:11], v[96:97]
	v_mul_f64 v[76:77], v[8:9], v[96:97]
	;; [unrolled: 1-line block ×3, first 2 shown]
	ds_read_b128 v[12:15], v114 offset:24480
	v_fma_f64 v[163:164], v[0:1], v[86:87], v[60:61]
	v_fma_f64 v[165:166], v[2:3], v[86:87], -v[68:69]
	ds_read_b128 v[0:3], v114 offset:38880
	v_fma_f64 v[167:168], v[4:5], v[90:91], v[70:71]
	v_fma_f64 v[169:170], v[6:7], v[90:91], -v[72:73]
	v_fma_f64 v[171:172], v[8:9], v[94:95], v[74:75]
	v_fma_f64 v[173:174], v[10:11], v[94:95], -v[76:77]
	ds_read_b128 v[4:7], v114 offset:25920
	ds_read_b128 v[8:11], v114 offset:40320
	v_fma_f64 v[161:162], v[20:21], v[82:83], -v[58:59]
	s_waitcnt vmcnt(5) lgkmcnt(3)
	v_mul_f64 v[20:21], v[14:15], v[100:101]
	v_mul_f64 v[58:59], v[12:13], v[100:101]
	s_waitcnt vmcnt(4) lgkmcnt(2)
	v_mul_f64 v[68:69], v[0:1], v[104:105]
	v_fma_f64 v[159:160], v[18:19], v[82:83], v[16:17]
	v_mul_f64 v[60:61], v[2:3], v[104:105]
	ds_read_b128 v[16:19], v114 offset:27360
	s_waitcnt vmcnt(3) lgkmcnt(2)
	v_mul_f64 v[70:71], v[6:7], v[110:111]
	v_mul_f64 v[72:73], v[4:5], v[110:111]
	v_fma_f64 v[104:105], v[12:13], v[98:99], v[20:21]
	v_fma_f64 v[175:176], v[14:15], v[98:99], -v[58:59]
	s_waitcnt vmcnt(2) lgkmcnt(1)
	v_mul_f64 v[12:13], v[10:11], v[123:124]
	v_mul_f64 v[14:15], v[8:9], v[123:124]
	v_fma_f64 v[179:180], v[2:3], v[102:103], -v[68:69]
	v_fma_f64 v[177:178], v[0:1], v[102:103], v[60:61]
	v_fma_f64 v[0:1], v[4:5], v[108:109], v[70:71]
	ds_read_b128 v[58:61], v114 offset:41760
	ds_read_b128 v[68:71], v114
	s_waitcnt vmcnt(1) lgkmcnt(2)
	v_mul_f64 v[2:3], v[18:19], v[127:128]
	v_fma_f64 v[181:182], v[6:7], v[108:109], -v[72:73]
	v_fma_f64 v[6:7], v[8:9], v[121:122], v[12:13]
	v_fma_f64 v[10:11], v[10:11], v[121:122], -v[14:15]
	v_mul_f64 v[4:5], v[16:17], v[127:128]
	v_add_f64 v[14:15], v[42:43], v[22:23]
	s_waitcnt vmcnt(0) lgkmcnt(1)
	v_mul_f64 v[8:9], v[60:61], v[139:140]
	v_add_f64 v[20:21], v[44:45], v[112:113]
	v_fma_f64 v[2:3], v[16:17], v[125:126], v[2:3]
	v_mul_f64 v[16:17], v[58:59], v[139:140]
	s_waitcnt lgkmcnt(0)
	v_add_f64 v[72:73], v[70:71], v[44:45]
	v_add_f64 v[74:75], v[68:69], v[42:43]
	v_fma_f64 v[12:13], v[18:19], v[125:126], -v[4:5]
	v_add_f64 v[44:45], v[44:45], -v[112:113]
	v_fma_f64 v[4:5], v[58:59], v[137:138], v[8:9]
	v_fma_f64 v[58:59], v[14:15], -0.5, v[68:69]
	v_add_f64 v[84:85], v[143:144], -v[80:81]
	v_fma_f64 v[8:9], v[60:61], v[137:138], -v[16:17]
	v_fma_f64 v[60:61], v[20:21], -0.5, v[70:71]
	v_add_f64 v[16:17], v[72:73], v[112:113]
	v_add_f64 v[14:15], v[74:75], v[22:23]
	;; [unrolled: 1-line block ×3, first 2 shown]
	v_add_f64 v[22:23], v[42:43], -v[22:23]
	v_add_f64 v[74:75], v[143:144], v[80:81]
	ds_read_b128 v[18:21], v107
	ds_read_b128 v[68:71], v106
	v_fma_f64 v[42:43], v[44:45], s[4:5], v[58:59]
	v_fma_f64 v[58:59], v[44:45], s[6:7], v[58:59]
	v_add_f64 v[86:87], v[129:130], v[145:146]
	s_waitcnt lgkmcnt(1)
	v_add_f64 v[76:77], v[20:21], v[143:144]
	v_fma_f64 v[82:83], v[72:73], -0.5, v[18:19]
	v_add_f64 v[18:19], v[18:19], v[141:142]
	v_fma_f64 v[44:45], v[22:23], s[6:7], v[60:61]
	v_fma_f64 v[60:61], v[22:23], s[4:5], v[60:61]
	v_fma_f64 v[20:21], v[74:75], -0.5, v[20:21]
	v_add_f64 v[22:23], v[141:142], -v[78:79]
	s_waitcnt lgkmcnt(0)
	v_add_f64 v[88:89], v[68:69], v[129:130]
	v_add_f64 v[74:75], v[76:77], v[80:81]
	v_fma_f64 v[76:77], v[84:85], s[4:5], v[82:83]
	v_add_f64 v[72:73], v[18:19], v[78:79]
	v_fma_f64 v[80:81], v[84:85], s[6:7], v[82:83]
	v_add_f64 v[18:19], v[131:132], v[62:63]
	v_add_f64 v[92:93], v[133:134], v[151:152]
	v_fma_f64 v[78:79], v[22:23], s[6:7], v[20:21]
	v_fma_f64 v[82:83], v[22:23], s[4:5], v[20:21]
	v_add_f64 v[20:21], v[135:136], v[153:154]
	v_add_f64 v[84:85], v[70:71], v[131:132]
	v_fma_f64 v[86:87], v[86:87], -0.5, v[68:69]
	v_add_f64 v[90:91], v[131:132], -v[62:63]
	v_fma_f64 v[18:19], v[18:19], -0.5, v[70:71]
	v_add_f64 v[68:69], v[88:89], v[145:146]
	v_add_f64 v[22:23], v[129:130], -v[145:146]
	v_fma_f64 v[94:95], v[92:93], -0.5, v[64:65]
	v_add_f64 v[88:89], v[66:67], v[135:136]
	v_add_f64 v[92:93], v[64:65], v[133:134]
	v_add_f64 v[96:97], v[135:136], -v[153:154]
	v_fma_f64 v[20:21], v[20:21], -0.5, v[66:67]
	v_add_f64 v[66:67], v[133:134], -v[151:152]
	v_add_f64 v[70:71], v[84:85], v[62:63]
	v_fma_f64 v[62:63], v[90:91], s[4:5], v[86:87]
	v_fma_f64 v[84:85], v[90:91], s[6:7], v[86:87]
	;; [unrolled: 1-line block ×3, first 2 shown]
	v_add_f64 v[90:91], v[88:89], v[153:154]
	v_add_f64 v[88:89], v[92:93], v[151:152]
	v_fma_f64 v[92:93], v[96:97], s[4:5], v[94:95]
	v_fma_f64 v[96:97], v[96:97], s[6:7], v[94:95]
	;; [unrolled: 1-line block ×4, first 2 shown]
	v_lshl_add_u32 v21, v37, 4, 0
	v_fma_f64 v[86:87], v[22:23], s[4:5], v[18:19]
	v_lshl_add_u32 v20, v36, 4, 0
	v_lshl_add_u32 v19, v34, 4, 0
	;; [unrolled: 1-line block ×3, first 2 shown]
	ds_read_b128 v[100:103], v21
	ds_read_b128 v[108:111], v20
	;; [unrolled: 1-line block ×6, first 2 shown]
	s_waitcnt lgkmcnt(0)
	s_barrier
	ds_write_b128 v114, v[14:17]
	ds_write_b128 v114, v[42:45] offset:4800
	ds_write_b128 v114, v[58:61] offset:9600
	ds_write_b128 v107, v[72:75]
	ds_write_b128 v107, v[76:79] offset:4800
	ds_write_b128 v107, v[80:83] offset:9600
	;; [unrolled: 3-line block ×3, first 2 shown]
	v_mov_b32_e32 v16, 0x3840
	v_cmp_lt_u32_e32 vcc, 29, v24
	v_add_f64 v[14:15], v[147:148], v[149:150]
	v_cndmask_b32_e32 v16, 0, v16, vcc
	v_lshlrev_b32_e32 v17, 4, v53
	v_add3_u32 v42, 0, v16, v17
	v_add_f64 v[16:17], v[155:156], v[157:158]
	v_add_f64 v[22:23], v[102:103], v[155:156]
	v_add_f64 v[58:59], v[155:156], -v[157:158]
	v_add_f64 v[62:63], v[147:148], -v[149:150]
	v_fma_f64 v[44:45], v[14:15], -0.5, v[100:101]
	v_add_f64 v[14:15], v[100:101], v[147:148]
	ds_write_b128 v42, v[88:91]
	ds_write_b128 v42, v[92:95] offset:4800
	ds_write_b128 v42, v[96:99] offset:9600
	v_fma_f64 v[60:61], v[16:17], -0.5, v[102:103]
	v_add_f64 v[16:17], v[22:23], v[157:158]
	v_add_f64 v[22:23], v[159:160], v[163:164]
	;; [unrolled: 1-line block ×3, first 2 shown]
	v_fma_f64 v[42:43], v[58:59], s[4:5], v[44:45]
	v_add_f64 v[14:15], v[14:15], v[149:150]
	v_fma_f64 v[58:59], v[58:59], s[6:7], v[44:45]
	v_add_f64 v[72:73], v[167:168], v[171:172]
	;; [unrolled: 2-line block ×3, first 2 shown]
	v_add_f64 v[66:67], v[110:111], v[161:162]
	v_add_f64 v[68:69], v[108:109], v[159:160]
	v_fma_f64 v[22:23], v[22:23], -0.5, v[108:109]
	v_add_f64 v[70:71], v[161:162], -v[165:166]
	ds_write_b128 v114, v[14:17] offset:15360
	ds_write_b128 v114, v[42:45] offset:20160
	v_add_f64 v[14:15], v[104:105], v[177:178]
	v_fma_f64 v[60:61], v[62:63], s[4:5], v[60:61]
	v_fma_f64 v[74:75], v[64:65], -0.5, v[110:111]
	v_add_f64 v[78:79], v[159:160], -v[163:164]
	v_fma_f64 v[80:81], v[72:73], -0.5, v[129:130]
	v_add_f64 v[82:83], v[131:132], v[169:170]
	v_add_f64 v[84:85], v[129:130], v[167:168]
	v_add_f64 v[86:87], v[169:170], -v[173:174]
	v_fma_f64 v[88:89], v[76:77], -0.5, v[131:132]
	v_add_f64 v[90:91], v[167:168], -v[171:172]
	v_add_f64 v[16:17], v[175:176], v[179:180]
	v_add_f64 v[64:65], v[66:67], v[165:166]
	;; [unrolled: 1-line block ×3, first 2 shown]
	v_fma_f64 v[66:67], v[70:71], s[4:5], v[22:23]
	v_fma_f64 v[70:71], v[70:71], s[6:7], v[22:23]
	v_fma_f64 v[22:23], v[14:15], -0.5, v[121:122]
	v_add_f64 v[14:15], v[123:124], v[175:176]
	v_add_f64 v[42:43], v[121:122], v[104:105]
	v_fma_f64 v[68:69], v[78:79], s[6:7], v[74:75]
	v_fma_f64 v[72:73], v[78:79], s[4:5], v[74:75]
	v_add_f64 v[76:77], v[82:83], v[173:174]
	v_add_f64 v[74:75], v[84:85], v[171:172]
	v_fma_f64 v[82:83], v[86:87], s[6:7], v[80:81]
	v_fma_f64 v[84:85], v[90:91], s[4:5], v[88:89]
	ds_write_b128 v114, v[58:61] offset:24960
	ds_write_b128 v114, v[62:65] offset:16800
	v_lshlrev_b32_e32 v44, 4, v54
	v_fma_f64 v[53:54], v[16:17], -0.5, v[123:124]
	v_add_f64 v[58:59], v[175:176], -v[179:180]
	v_add_f64 v[60:61], v[104:105], -v[177:178]
	v_fma_f64 v[78:79], v[86:87], s[4:5], v[80:81]
	v_fma_f64 v[80:81], v[90:91], s[6:7], v[88:89]
	v_add_f64 v[16:17], v[14:15], v[179:180]
	v_add_f64 v[14:15], v[42:43], v[177:178]
	v_mul_u32_u24_e32 v40, 0x3840, v40
	v_add3_u32 v40, 0, v40, v44
	ds_write_b128 v114, v[66:69] offset:21600
	ds_write_b128 v114, v[70:73] offset:26400
	ds_write_b128 v40, v[74:77]
	ds_write_b128 v40, v[78:81] offset:4800
	ds_write_b128 v40, v[82:85] offset:9600
	v_fma_f64 v[42:43], v[58:59], s[4:5], v[22:23]
	v_fma_f64 v[44:45], v[60:61], s[6:7], v[53:54]
	v_lshl_add_u32 v40, v55, 4, 0
	ds_write_b128 v40, v[14:17] offset:28800
	v_add_f64 v[16:17], v[127:128], v[181:182]
	v_fma_f64 v[58:59], v[58:59], s[6:7], v[22:23]
	v_add_f64 v[22:23], v[0:1], v[6:7]
	v_fma_f64 v[60:61], v[60:61], s[4:5], v[53:54]
	v_add_f64 v[14:15], v[181:182], v[10:11]
	ds_write_b128 v40, v[42:45] offset:33600
	v_add_f64 v[42:43], v[125:126], v[0:1]
	v_add_f64 v[44:45], v[181:182], -v[10:11]
	v_add_f64 v[53:54], v[2:3], v[4:5]
	v_add_f64 v[16:17], v[16:17], v[10:11]
	;; [unrolled: 1-line block ×3, first 2 shown]
	v_fma_f64 v[22:23], v[22:23], -0.5, v[125:126]
	ds_write_b128 v40, v[58:61] offset:38400
	v_fma_f64 v[58:59], v[14:15], -0.5, v[127:128]
	v_add_f64 v[14:15], v[42:43], v[6:7]
	v_add_f64 v[6:7], v[0:1], -v[6:7]
	v_add_f64 v[42:43], v[135:136], v[12:13]
	v_add_f64 v[60:61], v[133:134], v[2:3]
	v_fma_f64 v[53:54], v[53:54], -0.5, v[133:134]
	v_add_f64 v[62:63], v[12:13], -v[8:9]
	v_fma_f64 v[64:65], v[10:11], -0.5, v[135:136]
	v_add_f64 v[66:67], v[2:3], -v[4:5]
	v_fma_f64 v[0:1], v[44:45], s[4:5], v[22:23]
	v_fma_f64 v[2:3], v[6:7], s[6:7], v[58:59]
	;; [unrolled: 1-line block ×3, first 2 shown]
	v_add_f64 v[6:7], v[42:43], v[8:9]
	v_add_f64 v[4:5], v[60:61], v[4:5]
	v_fma_f64 v[10:11], v[44:45], s[6:7], v[22:23]
	v_fma_f64 v[42:43], v[62:63], s[4:5], v[53:54]
	;; [unrolled: 1-line block ×5, first 2 shown]
	v_lshl_add_u32 v8, v56, 4, 0
	ds_write_b128 v8, v[14:17] offset:28800
	ds_write_b128 v8, v[0:3] offset:33600
	;; [unrolled: 1-line block ×3, first 2 shown]
	v_lshl_add_u32 v0, v57, 4, 0
	s_movk_i32 s9, 0x3000
	ds_write_b128 v0, v[4:7] offset:28800
	ds_write_b128 v0, v[42:45] offset:33600
	ds_write_b128 v0, v[58:61] offset:38400
	v_add_co_u32_e32 v0, vcc, s9, v47
	v_addc_co_u32_e32 v1, vcc, 0, v48, vcc
	s_waitcnt lgkmcnt(0)
	s_barrier
	global_load_dwordx4 v[42:45], v[0:1], off offset:2064
	s_movk_i32 s8, 0x3810
	v_add_co_u32_e32 v0, vcc, s8, v47
	v_addc_co_u32_e32 v1, vcc, 0, v48, vcc
	global_load_dwordx4 v[12:15], v[0:1], off offset:16
	v_add_co_u32_e32 v0, vcc, s9, v49
	v_addc_co_u32_e32 v1, vcc, 0, v50, vcc
	global_load_dwordx4 v[53:56], v[0:1], off offset:2064
	;; [unrolled: 3-line block ×3, first 2 shown]
	v_add_co_u32_e32 v4, vcc, s9, v51
	v_addc_co_u32_e32 v5, vcc, 0, v52, vcc
	v_add_co_u32_e32 v6, vcc, s8, v51
	v_lshlrev_b32_e32 v40, 1, v38
	v_addc_co_u32_e32 v7, vcc, 0, v52, vcc
	global_load_dwordx4 v[57:60], v[4:5], off offset:2064
	global_load_dwordx4 v[0:3], v[6:7], off offset:16
	v_lshlrev_b64 v[4:5], 4, v[40:41]
	v_lshlrev_b32_e32 v40, 1, v37
	v_add_co_u32_e32 v4, vcc, s12, v4
	v_addc_co_u32_e32 v5, vcc, v46, v5, vcc
	v_add_co_u32_e32 v16, vcc, s9, v4
	v_addc_co_u32_e32 v17, vcc, 0, v5, vcc
	v_add_co_u32_e32 v22, vcc, s8, v4
	v_addc_co_u32_e32 v23, vcc, 0, v5, vcc
	ds_read_b128 v[61:64], v114 offset:14400
	global_load_dwordx4 v[8:11], v[16:17], off offset:2064
	global_load_dwordx4 v[4:7], v[22:23], off offset:16
	v_lshlrev_b64 v[22:23], 4, v[40:41]
	ds_read_b128 v[65:68], v114 offset:15840
	ds_read_b128 v[69:72], v114 offset:28800
	v_add_co_u32_e32 v40, vcc, s12, v22
	v_addc_co_u32_e32 v52, vcc, v46, v23, vcc
	v_add_co_u32_e32 v22, vcc, s9, v40
	v_addc_co_u32_e32 v23, vcc, 0, v52, vcc
	;; [unrolled: 2-line block ×3, first 2 shown]
	global_load_dwordx4 v[73:76], v[22:23], off offset:2064
	global_load_dwordx4 v[77:80], v[51:52], off offset:16
	v_lshlrev_b32_e32 v40, 1, v36
	v_lshlrev_b64 v[51:52], 4, v[40:41]
	ds_read_b128 v[81:84], v114 offset:30240
	v_add_co_u32_e32 v40, vcc, s12, v51
	v_addc_co_u32_e32 v51, vcc, v46, v52, vcc
	s_waitcnt vmcnt(9) lgkmcnt(3)
	v_mul_f64 v[16:17], v[63:64], v[44:45]
	v_mul_f64 v[22:23], v[61:62], v[44:45]
	s_waitcnt vmcnt(8) lgkmcnt(1)
	v_mul_f64 v[44:45], v[71:72], v[14:15]
	v_mul_f64 v[14:15], v[69:70], v[14:15]
	v_fma_f64 v[16:17], v[61:62], v[42:43], v[16:17]
	v_add_co_u32_e32 v61, vcc, s9, v40
	v_addc_co_u32_e32 v62, vcc, 0, v51, vcc
	v_fma_f64 v[22:23], v[63:64], v[42:43], -v[22:23]
	v_add_co_u32_e32 v63, vcc, s8, v40
	v_lshlrev_b32_e32 v40, 1, v35
	s_waitcnt vmcnt(6) lgkmcnt(0)
	v_mul_f64 v[133:134], v[83:84], v[49:50]
	v_fma_f64 v[135:136], v[69:70], v[12:13], v[44:45]
	v_mul_f64 v[69:70], v[81:82], v[49:50]
	v_addc_co_u32_e32 v64, vcc, 0, v51, vcc
	global_load_dwordx4 v[42:45], v[61:62], off offset:2064
	global_load_dwordx4 v[49:52], v[63:64], off offset:16
	v_lshlrev_b64 v[61:62], 4, v[40:41]
	v_fma_f64 v[139:140], v[71:72], v[12:13], -v[14:15]
	v_add_co_u32_e32 v40, vcc, s12, v61
	v_addc_co_u32_e32 v61, vcc, v46, v62, vcc
	v_add_co_u32_e32 v89, vcc, s9, v40
	v_addc_co_u32_e32 v90, vcc, 0, v61, vcc
	v_add_co_u32_e32 v91, vcc, s8, v40
	v_lshlrev_b32_e32 v40, 1, v34
	v_addc_co_u32_e32 v92, vcc, 0, v61, vcc
	global_load_dwordx4 v[61:64], v[89:90], off offset:2064
	global_load_dwordx4 v[85:88], v[91:92], off offset:16
	v_lshlrev_b64 v[89:90], 4, v[40:41]
	v_mul_f64 v[112:113], v[67:68], v[55:56]
	v_add_co_u32_e32 v40, vcc, s12, v89
	v_addc_co_u32_e32 v89, vcc, v46, v90, vcc
	v_add_co_u32_e32 v97, vcc, s9, v40
	v_addc_co_u32_e32 v98, vcc, 0, v89, vcc
	v_add_co_u32_e32 v99, vcc, s8, v40
	v_lshlrev_b32_e32 v40, 1, v33
	v_addc_co_u32_e32 v100, vcc, 0, v89, vcc
	global_load_dwordx4 v[89:92], v[97:98], off offset:2064
	global_load_dwordx4 v[93:96], v[99:100], off offset:16
	v_lshlrev_b64 v[97:98], 4, v[40:41]
	v_mul_f64 v[55:56], v[65:66], v[55:56]
	v_add_co_u32_e32 v40, vcc, s12, v97
	v_addc_co_u32_e32 v97, vcc, v46, v98, vcc
	v_add_co_u32_e32 v108, vcc, s9, v40
	v_addc_co_u32_e32 v109, vcc, 0, v97, vcc
	;; [unrolled: 2-line block ×3, first 2 shown]
	global_load_dwordx4 v[97:100], v[108:109], off offset:2064
	global_load_dwordx4 v[101:104], v[110:111], off offset:16
	v_lshlrev_b32_e32 v40, 1, v32
	v_lshlrev_b64 v[108:109], 4, v[40:41]
	v_fma_f64 v[81:82], v[81:82], v[47:48], v[133:134]
	v_add_co_u32_e32 v40, vcc, s12, v108
	v_addc_co_u32_e32 v46, vcc, v46, v109, vcc
	v_add_co_u32_e32 v108, vcc, s9, v40
	v_addc_co_u32_e32 v109, vcc, 0, v46, vcc
	global_load_dwordx4 v[108:111], v[108:109], off offset:2064
	v_add_co_u32_e32 v129, vcc, s8, v40
	v_addc_co_u32_e32 v130, vcc, 0, v46, vcc
	ds_read_b128 v[121:124], v114 offset:17280
	ds_read_b128 v[125:128], v114 offset:18720
	global_load_dwordx4 v[129:132], v[129:130], off offset:16
	ds_read_b128 v[12:15], v114 offset:31680
	v_fma_f64 v[83:84], v[83:84], v[47:48], -v[69:70]
	ds_read_b128 v[69:72], v114 offset:20160
	s_waitcnt vmcnt(15) lgkmcnt(3)
	v_mul_f64 v[137:138], v[123:124], v[59:60]
	v_mul_f64 v[59:60], v[121:122], v[59:60]
	s_waitcnt vmcnt(14) lgkmcnt(1)
	v_mul_f64 v[46:47], v[14:15], v[2:3]
	v_mul_f64 v[2:3], v[12:13], v[2:3]
	v_fma_f64 v[112:113], v[65:66], v[53:54], v[112:113]
	v_fma_f64 v[141:142], v[67:68], v[53:54], -v[55:56]
	s_waitcnt vmcnt(13)
	v_mul_f64 v[133:134], v[127:128], v[10:11]
	v_mul_f64 v[10:11], v[125:126], v[10:11]
	v_fma_f64 v[121:122], v[121:122], v[57:58], v[137:138]
	v_fma_f64 v[123:124], v[123:124], v[57:58], -v[59:60]
	ds_read_b128 v[57:60], v114 offset:33120
	ds_read_b128 v[65:68], v114 offset:34560
	v_fma_f64 v[143:144], v[12:13], v[0:1], v[46:47]
	v_fma_f64 v[145:146], v[14:15], v[0:1], -v[2:3]
	s_waitcnt vmcnt(11) lgkmcnt(2)
	v_mul_f64 v[12:13], v[71:72], v[75:76]
	s_waitcnt lgkmcnt(1)
	v_mul_f64 v[137:138], v[59:60], v[6:7]
	v_mul_f64 v[6:7], v[57:58], v[6:7]
	;; [unrolled: 1-line block ×3, first 2 shown]
	ds_read_b128 v[0:3], v114 offset:21600
	s_waitcnt vmcnt(10) lgkmcnt(1)
	v_mul_f64 v[46:47], v[67:68], v[79:80]
	v_mul_f64 v[75:76], v[65:66], v[79:80]
	v_fma_f64 v[79:80], v[125:126], v[8:9], v[133:134]
	v_fma_f64 v[125:126], v[127:128], v[8:9], -v[10:11]
	v_fma_f64 v[127:128], v[57:58], v[4:5], v[137:138]
	v_fma_f64 v[133:134], v[59:60], v[4:5], -v[6:7]
	ds_read_b128 v[4:7], v114 offset:36000
	ds_read_b128 v[53:56], v117
	v_fma_f64 v[137:138], v[69:70], v[73:74], v[12:13]
	v_fma_f64 v[147:148], v[71:72], v[73:74], -v[14:15]
	ds_read_b128 v[8:11], v114 offset:23040
	ds_read_b128 v[12:15], v114 offset:37440
	s_waitcnt vmcnt(9) lgkmcnt(4)
	v_mul_f64 v[57:58], v[2:3], v[44:45]
	v_mul_f64 v[59:60], v[0:1], v[44:45]
	v_fma_f64 v[149:150], v[65:66], v[77:78], v[46:47]
	v_fma_f64 v[151:152], v[67:68], v[77:78], -v[75:76]
	s_waitcnt vmcnt(8) lgkmcnt(3)
	v_mul_f64 v[65:66], v[6:7], v[51:52]
	v_mul_f64 v[51:52], v[4:5], v[51:52]
	ds_read_b128 v[44:47], v114 offset:24480
	s_waitcnt vmcnt(7) lgkmcnt(2)
	v_mul_f64 v[67:68], v[10:11], v[63:64]
	v_mul_f64 v[63:64], v[8:9], v[63:64]
	v_fma_f64 v[153:154], v[0:1], v[42:43], v[57:58]
	v_fma_f64 v[155:156], v[2:3], v[42:43], -v[59:60]
	ds_read_b128 v[0:3], v114 offset:38880
	s_waitcnt vmcnt(5) lgkmcnt(1)
	v_mul_f64 v[42:43], v[46:47], v[91:92]
	v_mul_f64 v[69:70], v[14:15], v[87:88]
	;; [unrolled: 1-line block ×3, first 2 shown]
	v_fma_f64 v[157:158], v[4:5], v[49:50], v[65:66]
	v_fma_f64 v[159:160], v[6:7], v[49:50], -v[51:52]
	v_fma_f64 v[161:162], v[8:9], v[61:62], v[67:68]
	v_fma_f64 v[163:164], v[10:11], v[61:62], -v[63:64]
	ds_read_b128 v[4:7], v114 offset:25920
	ds_read_b128 v[8:11], v114 offset:40320
	v_mul_f64 v[48:49], v[44:45], v[91:92]
	v_fma_f64 v[169:170], v[44:45], v[89:90], v[42:43]
	v_fma_f64 v[165:166], v[12:13], v[85:86], v[69:70]
	v_fma_f64 v[167:168], v[14:15], v[85:86], -v[71:72]
	s_waitcnt vmcnt(4) lgkmcnt(2)
	v_mul_f64 v[50:51], v[2:3], v[95:96]
	v_mul_f64 v[57:58], v[0:1], v[95:96]
	ds_read_b128 v[12:15], v114 offset:27360
	s_waitcnt vmcnt(3) lgkmcnt(2)
	v_mul_f64 v[59:60], v[6:7], v[99:100]
	s_waitcnt vmcnt(2) lgkmcnt(1)
	v_mul_f64 v[42:43], v[10:11], v[103:104]
	v_mul_f64 v[44:45], v[8:9], v[103:104]
	;; [unrolled: 1-line block ×3, first 2 shown]
	v_fma_f64 v[171:172], v[46:47], v[89:90], -v[48:49]
	v_fma_f64 v[173:174], v[0:1], v[93:94], v[50:51]
	v_fma_f64 v[175:176], v[2:3], v[93:94], -v[57:58]
	ds_read_b128 v[0:3], v114 offset:41760
	v_fma_f64 v[177:178], v[4:5], v[97:98], v[59:60]
	v_fma_f64 v[181:182], v[8:9], v[101:102], v[42:43]
	v_fma_f64 v[183:184], v[10:11], v[101:102], -v[44:45]
	ds_read_b128 v[101:104], v119
	v_fma_f64 v[179:180], v[6:7], v[97:98], -v[61:62]
	ds_read_b128 v[4:7], v114
	s_waitcnt vmcnt(1) lgkmcnt(3)
	v_mul_f64 v[46:47], v[14:15], v[110:111]
	v_mul_f64 v[8:9], v[12:13], v[110:111]
	v_add_f64 v[42:43], v[16:17], v[135:136]
	v_add_f64 v[44:45], v[22:23], v[139:140]
	s_waitcnt lgkmcnt(0)
	v_add_f64 v[48:49], v[4:5], v[16:17]
	s_waitcnt vmcnt(0)
	v_mul_f64 v[10:11], v[2:3], v[131:132]
	v_add_f64 v[16:17], v[16:17], -v[135:136]
	v_add_f64 v[63:64], v[141:142], -v[83:84]
	v_fma_f64 v[185:186], v[12:13], v[108:109], v[46:47]
	v_mul_f64 v[12:13], v[0:1], v[131:132]
	v_add_f64 v[46:47], v[6:7], v[22:23]
	v_fma_f64 v[187:188], v[14:15], v[108:109], -v[8:9]
	v_add_f64 v[14:15], v[22:23], -v[139:140]
	v_fma_f64 v[189:190], v[0:1], v[129:130], v[10:11]
	v_fma_f64 v[10:11], v[42:43], -0.5, v[4:5]
	v_fma_f64 v[50:51], v[44:45], -0.5, v[6:7]
	v_add_f64 v[0:1], v[48:49], v[135:136]
	v_fma_f64 v[22:23], v[2:3], v[129:130], -v[12:13]
	v_add_f64 v[2:3], v[46:47], v[139:140]
	v_add_f64 v[46:47], v[112:113], v[81:82]
	;; [unrolled: 1-line block ×3, first 2 shown]
	ds_read_b128 v[4:7], v107
	ds_read_b128 v[42:45], v106
	v_fma_f64 v[8:9], v[14:15], s[4:5], v[10:11]
	v_fma_f64 v[12:13], v[14:15], s[6:7], v[10:11]
	;; [unrolled: 1-line block ×3, first 2 shown]
	s_waitcnt lgkmcnt(1)
	v_add_f64 v[57:58], v[6:7], v[141:142]
	v_add_f64 v[59:60], v[4:5], v[112:113]
	v_fma_f64 v[61:62], v[46:47], -0.5, v[4:5]
	v_fma_f64 v[14:15], v[16:17], s[4:5], v[50:51]
	v_fma_f64 v[16:17], v[48:49], -0.5, v[6:7]
	v_add_f64 v[48:49], v[121:122], v[143:144]
	v_add_f64 v[50:51], v[112:113], -v[81:82]
	v_add_f64 v[65:66], v[123:124], v[145:146]
	s_waitcnt lgkmcnt(0)
	v_add_f64 v[67:68], v[44:45], v[123:124]
	v_add_f64 v[6:7], v[57:58], v[83:84]
	;; [unrolled: 1-line block ×3, first 2 shown]
	v_fma_f64 v[46:47], v[63:64], s[4:5], v[61:62]
	v_fma_f64 v[57:58], v[63:64], s[6:7], v[61:62]
	v_fma_f64 v[63:64], v[48:49], -0.5, v[42:43]
	v_add_f64 v[69:70], v[123:124], -v[145:146]
	v_fma_f64 v[48:49], v[50:51], s[6:7], v[16:17]
	v_fma_f64 v[59:60], v[50:51], s[4:5], v[16:17]
	v_fma_f64 v[16:17], v[65:66], -0.5, v[44:45]
	v_add_f64 v[44:45], v[67:68], v[145:146]
	v_add_f64 v[65:66], v[121:122], -v[143:144]
	v_add_f64 v[67:68], v[79:80], v[127:128]
	v_add_f64 v[71:72], v[125:126], v[133:134]
	v_fma_f64 v[61:62], v[69:70], s[4:5], v[63:64]
	v_add_f64 v[73:74], v[55:56], v[125:126]
	v_add_f64 v[75:76], v[53:54], v[79:80]
	v_fma_f64 v[50:51], v[69:70], s[6:7], v[63:64]
	v_add_f64 v[83:84], v[125:126], -v[133:134]
	v_fma_f64 v[63:64], v[65:66], s[6:7], v[16:17]
	v_fma_f64 v[81:82], v[67:68], -0.5, v[53:54]
	v_fma_f64 v[52:53], v[65:66], s[4:5], v[16:17]
	v_fma_f64 v[16:17], v[71:72], -0.5, v[55:56]
	v_add_f64 v[54:55], v[137:138], v[149:150]
	ds_read_b128 v[69:72], v21
	v_add_f64 v[85:86], v[79:80], -v[127:128]
	ds_read_b128 v[77:80], v20
	v_add_f64 v[87:88], v[147:148], v[151:152]
	v_add_f64 v[93:94], v[147:148], -v[151:152]
	s_waitcnt lgkmcnt(1)
	v_add_f64 v[89:90], v[71:72], v[147:148]
	v_add_f64 v[67:68], v[73:74], v[133:134]
	v_fma_f64 v[54:55], v[54:55], -0.5, v[69:70]
	v_add_f64 v[65:66], v[75:76], v[127:128]
	v_fma_f64 v[73:74], v[83:84], s[4:5], v[81:82]
	v_fma_f64 v[81:82], v[83:84], s[6:7], v[81:82]
	;; [unrolled: 1-line block ×4, first 2 shown]
	v_fma_f64 v[16:17], v[87:88], -0.5, v[71:72]
	v_add_f64 v[71:72], v[89:90], v[151:152]
	v_fma_f64 v[85:86], v[93:94], s[4:5], v[54:55]
	v_add_f64 v[99:100], v[155:156], v[159:160]
	v_fma_f64 v[89:90], v[93:94], s[6:7], v[54:55]
	s_waitcnt lgkmcnt(0)
	v_add_f64 v[54:55], v[79:80], v[155:156]
	v_add_f64 v[91:92], v[69:70], v[137:138]
	v_add_f64 v[95:96], v[137:138], -v[149:150]
	v_add_f64 v[97:98], v[153:154], v[157:158]
	v_add_f64 v[93:94], v[77:78], v[153:154]
	;; [unrolled: 1-line block ×3, first 2 shown]
	v_fma_f64 v[110:111], v[99:100], -0.5, v[79:80]
	v_add_f64 v[99:100], v[161:162], v[165:166]
	v_add_f64 v[79:80], v[54:55], v[159:160]
	;; [unrolled: 1-line block ×4, first 2 shown]
	v_fma_f64 v[87:88], v[95:96], s[6:7], v[16:17]
	v_fma_f64 v[91:92], v[95:96], s[4:5], v[16:17]
	v_fma_f64 v[16:17], v[97:98], -0.5, v[77:78]
	v_add_f64 v[77:78], v[93:94], v[157:158]
	ds_read_b128 v[93:96], v120
	v_add_f64 v[108:109], v[155:156], -v[159:160]
	v_add_f64 v[112:113], v[153:154], -v[157:158]
	;; [unrolled: 1-line block ×4, first 2 shown]
	s_waitcnt lgkmcnt(0)
	v_fma_f64 v[123:124], v[99:100], -0.5, v[93:94]
	v_add_f64 v[121:122], v[95:96], v[163:164]
	v_add_f64 v[125:126], v[93:94], v[161:162]
	v_fma_f64 v[54:55], v[54:55], -0.5, v[95:96]
	v_add_f64 v[42:43], v[42:43], v[143:144]
	v_fma_f64 v[97:98], v[108:109], s[4:5], v[16:17]
	v_fma_f64 v[93:94], v[108:109], s[6:7], v[16:17]
	;; [unrolled: 1-line block ×4, first 2 shown]
	v_add_f64 v[110:111], v[121:122], v[167:168]
	v_add_f64 v[108:109], v[125:126], v[165:166]
	v_fma_f64 v[121:122], v[127:128], s[4:5], v[123:124]
	v_fma_f64 v[125:126], v[127:128], s[6:7], v[123:124]
	;; [unrolled: 1-line block ×4, first 2 shown]
	ds_read_b128 v[129:132], v19
	ds_read_b128 v[133:136], v18
	s_waitcnt lgkmcnt(0)
	s_barrier
	ds_write_b128 v114, v[0:3]
	ds_write_b128 v114, v[8:11] offset:14400
	ds_write_b128 v114, v[12:15] offset:28800
	ds_write_b128 v107, v[4:7]
	ds_write_b128 v107, v[46:49] offset:14400
	ds_write_b128 v107, v[57:60] offset:28800
	;; [unrolled: 3-line block ×4, first 2 shown]
	ds_write_b128 v21, v[69:72]
	ds_write_b128 v21, v[85:88] offset:14400
	v_add_f64 v[0:1], v[169:170], v[173:174]
	v_add_f64 v[2:3], v[171:172], v[175:176]
	;; [unrolled: 1-line block ×7, first 2 shown]
	v_add_f64 v[8:9], v[171:172], -v[175:176]
	v_fma_f64 v[6:7], v[0:1], -0.5, v[129:130]
	v_add_f64 v[0:1], v[129:130], v[169:170]
	v_fma_f64 v[10:11], v[2:3], -0.5, v[131:132]
	v_add_f64 v[12:13], v[169:170], -v[173:174]
	v_add_f64 v[42:43], v[135:136], v[179:180]
	v_add_f64 v[44:45], v[133:134], v[177:178]
	v_fma_f64 v[46:47], v[14:15], -0.5, v[133:134]
	v_add_f64 v[48:49], v[179:180], -v[183:184]
	v_fma_f64 v[16:17], v[16:17], -0.5, v[135:136]
	v_add_f64 v[54:55], v[177:178], -v[181:182]
	v_fma_f64 v[56:57], v[50:51], -0.5, v[101:102]
	v_add_f64 v[50:51], v[103:104], v[187:188]
	v_add_f64 v[58:59], v[101:102], v[185:186]
	v_add_f64 v[60:61], v[187:188], -v[22:23]
	v_fma_f64 v[62:63], v[52:53], -0.5, v[103:104]
	v_add_f64 v[64:65], v[185:186], -v[189:190]
	v_add_f64 v[2:3], v[4:5], v[175:176]
	v_add_f64 v[0:1], v[0:1], v[173:174]
	v_fma_f64 v[4:5], v[8:9], s[4:5], v[6:7]
	v_fma_f64 v[8:9], v[8:9], s[6:7], v[6:7]
	;; [unrolled: 1-line block ×4, first 2 shown]
	v_add_f64 v[14:15], v[42:43], v[183:184]
	v_add_f64 v[12:13], v[44:45], v[181:182]
	v_fma_f64 v[42:43], v[48:49], s[4:5], v[46:47]
	v_fma_f64 v[44:45], v[54:55], s[6:7], v[16:17]
	;; [unrolled: 1-line block ×4, first 2 shown]
	v_add_f64 v[52:53], v[50:51], v[22:23]
	v_add_f64 v[50:51], v[58:59], v[189:190]
	v_fma_f64 v[54:55], v[60:61], s[4:5], v[56:57]
	v_fma_f64 v[58:59], v[60:61], s[6:7], v[56:57]
	;; [unrolled: 1-line block ×3, first 2 shown]
	ds_write_b128 v21, v[89:92] offset:28800
	ds_write_b128 v20, v[77:80]
	ds_write_b128 v20, v[97:100] offset:14400
	ds_write_b128 v20, v[93:96] offset:28800
	ds_write_b128 v120, v[108:111]
	ds_write_b128 v120, v[121:124] offset:14400
	ds_write_b128 v120, v[125:128] offset:28800
	v_fma_f64 v[60:61], v[64:65], s[4:5], v[62:63]
	ds_write_b128 v19, v[0:3]
	ds_write_b128 v19, v[4:7] offset:14400
	ds_write_b128 v19, v[8:11] offset:28800
	ds_write_b128 v18, v[12:15]
	ds_write_b128 v18, v[42:45] offset:14400
	ds_write_b128 v18, v[46:49] offset:28800
	;; [unrolled: 3-line block ×3, first 2 shown]
	s_waitcnt lgkmcnt(0)
	s_barrier
	ds_read_b128 v[4:7], v114
	s_add_u32 s6, s12, 0xa890
	s_addc_u32 s7, s13, 0
	v_sub_u32_e32 v10, 0, v25
	v_cmp_ne_u32_e32 vcc, 0, v24
                                        ; implicit-def: $vgpr8_vgpr9
                                        ; implicit-def: $vgpr2_vgpr3
	s_and_saveexec_b64 s[4:5], vcc
	s_xor_b64 s[4:5], exec, s[4:5]
	s_cbranch_execz .LBB0_15
; %bb.14:
	v_mov_b32_e32 v25, v41
	v_lshlrev_b64 v[0:1], 4, v[24:25]
	v_mov_b32_e32 v2, s7
	v_add_co_u32_e32 v0, vcc, s6, v0
	v_addc_co_u32_e32 v1, vcc, v2, v1, vcc
	global_load_dwordx4 v[11:14], v[0:1], off
	ds_read_b128 v[0:3], v10 offset:43200
	s_waitcnt lgkmcnt(0)
	v_add_f64 v[8:9], v[4:5], -v[0:1]
	v_add_f64 v[15:16], v[6:7], v[2:3]
	v_add_f64 v[2:3], v[6:7], -v[2:3]
	v_add_f64 v[0:1], v[4:5], v[0:1]
	v_mul_f64 v[6:7], v[8:9], 0.5
	v_mul_f64 v[4:5], v[15:16], 0.5
	;; [unrolled: 1-line block ×3, first 2 shown]
	s_waitcnt vmcnt(0)
	v_mul_f64 v[8:9], v[6:7], v[13:14]
	v_fma_f64 v[15:16], v[4:5], v[13:14], v[2:3]
	v_fma_f64 v[2:3], v[4:5], v[13:14], -v[2:3]
	v_fma_f64 v[22:23], v[0:1], 0.5, v[8:9]
	v_fma_f64 v[0:1], v[0:1], 0.5, -v[8:9]
	v_fma_f64 v[8:9], -v[11:12], v[6:7], v[15:16]
	v_fma_f64 v[2:3], -v[11:12], v[6:7], v[2:3]
	v_fma_f64 v[13:14], v[4:5], v[11:12], v[22:23]
	v_fma_f64 v[0:1], -v[4:5], v[11:12], v[0:1]
                                        ; implicit-def: $vgpr4_vgpr5
	ds_write_b64 v114, v[13:14]
.LBB0_15:
	s_or_saveexec_b64 s[4:5], s[4:5]
	v_sub_u32_e32 v12, 0, v118
	v_sub_u32_e32 v11, 0, v29
	s_xor_b64 exec, exec, s[4:5]
	s_cbranch_execz .LBB0_17
; %bb.16:
	s_waitcnt lgkmcnt(0)
	v_add_f64 v[2:3], v[4:5], v[6:7]
	v_mov_b32_e32 v15, 0
	ds_read_b64 v[13:14], v15 offset:21608
	v_add_f64 v[0:1], v[4:5], -v[6:7]
	v_mov_b32_e32 v8, 0
	v_mov_b32_e32 v9, 0
	s_waitcnt lgkmcnt(0)
	v_xor_b32_e32 v14, 0x80000000, v14
	ds_write_b64 v15, v[13:14] offset:21608
	ds_write_b64 v114, v[2:3]
	v_mov_b32_e32 v2, v8
	v_mov_b32_e32 v3, v9
.LBB0_17:
	s_or_b64 exec, exec, s[4:5]
	v_mov_b32_e32 v29, 0
	s_waitcnt lgkmcnt(0)
	v_lshlrev_b64 v[4:5], 4, v[28:29]
	v_mov_b32_e32 v6, s7
	v_add_co_u32_e32 v4, vcc, s6, v4
	v_addc_co_u32_e32 v5, vcc, v6, v5, vcc
	global_load_dwordx4 v[4:7], v[4:5], off
	v_mov_b32_e32 v40, v29
	v_lshlrev_b64 v[13:14], 4, v[39:40]
	v_mov_b32_e32 v15, s7
	v_add_co_u32_e32 v13, vcc, s6, v13
	v_addc_co_u32_e32 v14, vcc, v15, v14, vcc
	global_load_dwordx4 v[13:16], v[13:14], off
	ds_write_b64 v114, v[8:9] offset:8
	ds_write_b128 v10, v[0:3] offset:43200
	ds_read_b128 v[0:3], v107
	ds_read_b128 v[39:42], v10 offset:41760
	v_mov_b32_e32 v17, s7
	v_add_u32_e32 v25, v116, v12
	v_mov_b32_e32 v28, s7
	s_waitcnt lgkmcnt(0)
	v_add_f64 v[8:9], v[0:1], -v[39:40]
	v_add_f64 v[22:23], v[2:3], v[41:42]
	v_add_f64 v[2:3], v[2:3], -v[41:42]
	v_add_f64 v[0:1], v[0:1], v[39:40]
	v_mov_b32_e32 v39, v29
	v_lshlrev_b64 v[38:39], 4, v[38:39]
	v_mul_f64 v[41:42], v[8:9], 0.5
	v_mul_f64 v[22:23], v[22:23], 0.5
	;; [unrolled: 1-line block ×3, first 2 shown]
	s_waitcnt vmcnt(1)
	v_mul_f64 v[8:9], v[41:42], v[6:7]
	v_fma_f64 v[43:44], v[22:23], v[6:7], v[2:3]
	v_fma_f64 v[6:7], v[22:23], v[6:7], -v[2:3]
	v_fma_f64 v[45:46], v[0:1], 0.5, v[8:9]
	v_fma_f64 v[47:48], v[0:1], 0.5, -v[8:9]
	v_add_co_u32_e32 v0, vcc, s6, v38
	v_addc_co_u32_e32 v1, vcc, v17, v39, vcc
	global_load_dwordx4 v[0:3], v[0:1], off
	v_fma_f64 v[8:9], -v[4:5], v[41:42], v[43:44]
	v_fma_f64 v[40:41], -v[4:5], v[41:42], v[6:7]
	v_fma_f64 v[6:7], v[22:23], v[4:5], v[45:46]
	v_fma_f64 v[38:39], -v[22:23], v[4:5], v[47:48]
	ds_write_b128 v107, v[6:9]
	ds_write_b128 v10, v[38:41] offset:41760
	ds_read_b128 v[4:7], v106
	ds_read_b128 v[38:41], v10 offset:40320
	s_waitcnt lgkmcnt(0)
	v_add_f64 v[8:9], v[4:5], -v[38:39]
	v_add_f64 v[22:23], v[6:7], v[40:41]
	v_add_f64 v[6:7], v[6:7], -v[40:41]
	v_add_f64 v[4:5], v[4:5], v[38:39]
	v_mov_b32_e32 v38, v29
	v_lshlrev_b64 v[37:38], 4, v[37:38]
	v_mul_f64 v[8:9], v[8:9], 0.5
	v_mul_f64 v[22:23], v[22:23], 0.5
	;; [unrolled: 1-line block ×3, first 2 shown]
	s_waitcnt vmcnt(1)
	v_mul_f64 v[39:40], v[8:9], v[15:16]
	v_fma_f64 v[41:42], v[22:23], v[15:16], v[6:7]
	v_fma_f64 v[15:16], v[22:23], v[15:16], -v[6:7]
	v_fma_f64 v[43:44], v[4:5], 0.5, v[39:40]
	v_fma_f64 v[45:46], v[4:5], 0.5, -v[39:40]
	v_add_co_u32_e32 v4, vcc, s6, v37
	v_addc_co_u32_e32 v5, vcc, v17, v38, vcc
	global_load_dwordx4 v[4:7], v[4:5], off
	v_fma_f64 v[39:40], -v[13:14], v[8:9], v[41:42]
	v_fma_f64 v[37:38], v[22:23], v[13:14], v[43:44]
	v_fma_f64 v[15:16], -v[13:14], v[8:9], v[15:16]
	v_fma_f64 v[13:14], -v[22:23], v[13:14], v[45:46]
	ds_write_b128 v106, v[37:40]
	ds_write_b128 v10, v[13:16] offset:40320
	ds_read_b128 v[13:16], v117
	ds_read_b128 v[37:40], v10 offset:38880
	s_waitcnt lgkmcnt(0)
	v_add_f64 v[8:9], v[13:14], -v[37:38]
	v_add_f64 v[22:23], v[15:16], v[39:40]
	v_add_f64 v[15:16], v[15:16], -v[39:40]
	v_add_f64 v[13:14], v[13:14], v[37:38]
	v_mov_b32_e32 v37, v29
	v_lshlrev_b64 v[36:37], 4, v[36:37]
	v_mul_f64 v[8:9], v[8:9], 0.5
	v_mul_f64 v[22:23], v[22:23], 0.5
	v_mul_f64 v[15:16], v[15:16], 0.5
	s_waitcnt vmcnt(1)
	v_mul_f64 v[38:39], v[8:9], v[2:3]
	v_fma_f64 v[40:41], v[22:23], v[2:3], v[15:16]
	v_fma_f64 v[2:3], v[22:23], v[2:3], -v[15:16]
	v_fma_f64 v[42:43], v[13:14], 0.5, v[38:39]
	v_fma_f64 v[44:45], v[13:14], 0.5, -v[38:39]
	v_add_co_u32_e32 v13, vcc, s6, v36
	v_addc_co_u32_e32 v14, vcc, v17, v37, vcc
	global_load_dwordx4 v[13:16], v[13:14], off
	v_fma_f64 v[38:39], -v[0:1], v[8:9], v[40:41]
	v_fma_f64 v[36:37], v[22:23], v[0:1], v[42:43]
	v_fma_f64 v[2:3], -v[0:1], v[8:9], v[2:3]
	v_fma_f64 v[0:1], -v[22:23], v[0:1], v[44:45]
	ds_write_b128 v117, v[36:39]
	ds_write_b128 v10, v[0:3] offset:38880
	ds_read_b128 v[0:3], v21
	ds_read_b128 v[36:39], v10 offset:37440
	s_waitcnt lgkmcnt(0)
	v_add_f64 v[8:9], v[0:1], -v[36:37]
	v_add_f64 v[22:23], v[2:3], v[38:39]
	v_add_f64 v[2:3], v[2:3], -v[38:39]
	v_add_f64 v[0:1], v[0:1], v[36:37]
	v_mov_b32_e32 v36, v29
	v_lshlrev_b64 v[35:36], 4, v[35:36]
	v_mul_f64 v[38:39], v[8:9], 0.5
	v_mul_f64 v[22:23], v[22:23], 0.5
	;; [unrolled: 1-line block ×3, first 2 shown]
	s_waitcnt vmcnt(1)
	v_mul_f64 v[8:9], v[38:39], v[6:7]
	v_fma_f64 v[40:41], v[22:23], v[6:7], v[2:3]
	v_fma_f64 v[6:7], v[22:23], v[6:7], -v[2:3]
	v_fma_f64 v[42:43], v[0:1], 0.5, v[8:9]
	v_fma_f64 v[44:45], v[0:1], 0.5, -v[8:9]
	v_add_co_u32_e32 v0, vcc, s6, v35
	v_addc_co_u32_e32 v1, vcc, v17, v36, vcc
	global_load_dwordx4 v[0:3], v[0:1], off
	v_fma_f64 v[8:9], -v[4:5], v[38:39], v[40:41]
	v_fma_f64 v[37:38], -v[4:5], v[38:39], v[6:7]
	v_fma_f64 v[6:7], v[22:23], v[4:5], v[42:43]
	v_fma_f64 v[35:36], -v[22:23], v[4:5], v[44:45]
	ds_write_b128 v21, v[6:9]
	ds_write_b128 v10, v[35:38] offset:37440
	ds_read_b128 v[4:7], v20
	ds_read_b128 v[35:38], v10 offset:36000
	s_waitcnt lgkmcnt(0)
	v_add_f64 v[8:9], v[4:5], -v[35:36]
	v_add_f64 v[21:22], v[6:7], v[37:38]
	v_add_f64 v[6:7], v[6:7], -v[37:38]
	v_add_f64 v[4:5], v[4:5], v[35:36]
	v_mov_b32_e32 v35, v29
	v_lshlrev_b64 v[34:35], 4, v[34:35]
	v_mul_f64 v[8:9], v[8:9], 0.5
	v_mul_f64 v[21:22], v[21:22], 0.5
	;; [unrolled: 1-line block ×3, first 2 shown]
	s_waitcnt vmcnt(1)
	v_mul_f64 v[36:37], v[8:9], v[15:16]
	v_fma_f64 v[38:39], v[21:22], v[15:16], v[6:7]
	v_fma_f64 v[15:16], v[21:22], v[15:16], -v[6:7]
	v_fma_f64 v[40:41], v[4:5], 0.5, v[36:37]
	v_fma_f64 v[42:43], v[4:5], 0.5, -v[36:37]
	v_add_co_u32_e32 v4, vcc, s6, v34
	v_addc_co_u32_e32 v5, vcc, v17, v35, vcc
	global_load_dwordx4 v[4:7], v[4:5], off
	v_fma_f64 v[36:37], -v[13:14], v[8:9], v[38:39]
	v_fma_f64 v[34:35], v[21:22], v[13:14], v[40:41]
	v_fma_f64 v[15:16], -v[13:14], v[8:9], v[15:16]
	v_fma_f64 v[13:14], -v[21:22], v[13:14], v[42:43]
	ds_write_b128 v20, v[34:37]
	ds_write_b128 v10, v[13:16] offset:36000
	ds_read_b128 v[12:15], v25
	ds_read_b128 v[20:23], v10 offset:34560
	v_mov_b32_e32 v34, v29
	s_waitcnt lgkmcnt(0)
	v_add_f64 v[8:9], v[12:13], -v[20:21]
	v_add_f64 v[16:17], v[14:15], v[22:23]
	v_add_f64 v[14:15], v[14:15], -v[22:23]
	v_add_f64 v[12:13], v[12:13], v[20:21]
	v_lshlrev_b64 v[22:23], 4, v[33:34]
	v_mul_f64 v[8:9], v[8:9], 0.5
	v_mul_f64 v[16:17], v[16:17], 0.5
	;; [unrolled: 1-line block ×3, first 2 shown]
	s_waitcnt vmcnt(1)
	v_mul_f64 v[20:21], v[8:9], v[2:3]
	v_fma_f64 v[33:34], v[16:17], v[2:3], v[14:15]
	v_fma_f64 v[2:3], v[16:17], v[2:3], -v[14:15]
	v_fma_f64 v[35:36], v[12:13], 0.5, v[20:21]
	v_fma_f64 v[37:38], v[12:13], 0.5, -v[20:21]
	v_add_co_u32_e32 v12, vcc, s6, v22
	v_addc_co_u32_e32 v13, vcc, v28, v23, vcc
	global_load_dwordx4 v[12:15], v[12:13], off
	v_fma_f64 v[22:23], -v[0:1], v[8:9], v[33:34]
	v_fma_f64 v[20:21], v[16:17], v[0:1], v[35:36]
	v_fma_f64 v[2:3], -v[0:1], v[8:9], v[2:3]
	v_fma_f64 v[0:1], -v[16:17], v[0:1], v[37:38]
	ds_write_b128 v25, v[20:23]
	ds_write_b128 v10, v[0:3] offset:34560
	ds_read_b128 v[0:3], v19
	ds_read_b128 v[20:23], v10 offset:33120
	v_mov_b32_e32 v33, v29
	v_mov_b32_e32 v25, s7
	v_add_u32_e32 v28, 0x384, v24
	s_waitcnt lgkmcnt(0)
	v_add_f64 v[8:9], v[0:1], -v[20:21]
	v_add_f64 v[16:17], v[2:3], v[22:23]
	v_add_f64 v[2:3], v[2:3], -v[22:23]
	v_add_f64 v[0:1], v[0:1], v[20:21]
	v_lshlrev_b64 v[20:21], 4, v[32:33]
	v_mul_f64 v[22:23], v[8:9], 0.5
	v_mul_f64 v[16:17], v[16:17], 0.5
	;; [unrolled: 1-line block ×3, first 2 shown]
	s_waitcnt vmcnt(1)
	v_mul_f64 v[8:9], v[22:23], v[6:7]
	v_fma_f64 v[32:33], v[16:17], v[6:7], v[2:3]
	v_fma_f64 v[6:7], v[16:17], v[6:7], -v[2:3]
	v_fma_f64 v[34:35], v[0:1], 0.5, v[8:9]
	v_fma_f64 v[36:37], v[0:1], 0.5, -v[8:9]
	v_add_co_u32_e32 v0, vcc, s6, v20
	v_addc_co_u32_e32 v1, vcc, v25, v21, vcc
	global_load_dwordx4 v[0:3], v[0:1], off
	v_fma_f64 v[8:9], -v[4:5], v[22:23], v[32:33]
	v_fma_f64 v[22:23], -v[4:5], v[22:23], v[6:7]
	v_fma_f64 v[6:7], v[16:17], v[4:5], v[34:35]
	v_fma_f64 v[20:21], -v[16:17], v[4:5], v[36:37]
	ds_write_b128 v19, v[6:9]
	ds_write_b128 v10, v[20:23] offset:33120
	ds_read_b128 v[4:7], v18
	ds_read_b128 v[19:22], v10 offset:31680
	v_mov_b32_e32 v23, s7
	s_waitcnt lgkmcnt(0)
	v_add_f64 v[8:9], v[4:5], -v[19:20]
	v_add_f64 v[16:17], v[6:7], v[21:22]
	v_add_f64 v[6:7], v[6:7], -v[21:22]
	v_add_f64 v[4:5], v[4:5], v[19:20]
	v_lshlrev_b64 v[19:20], 4, v[28:29]
	v_add_u32_e32 v28, 0x3de, v24
	v_mul_f64 v[8:9], v[8:9], 0.5
	v_mul_f64 v[32:33], v[16:17], 0.5
	;; [unrolled: 1-line block ×3, first 2 shown]
	s_waitcnt vmcnt(1)
	v_mul_f64 v[16:17], v[8:9], v[14:15]
	v_fma_f64 v[21:22], v[32:33], v[14:15], v[6:7]
	v_fma_f64 v[14:15], v[32:33], v[14:15], -v[6:7]
	v_fma_f64 v[34:35], v[4:5], 0.5, v[16:17]
	v_fma_f64 v[36:37], v[4:5], 0.5, -v[16:17]
	v_add_co_u32_e32 v4, vcc, s6, v19
	v_addc_co_u32_e32 v5, vcc, v23, v20, vcc
	global_load_dwordx4 v[4:7], v[4:5], off
	v_fma_f64 v[16:17], -v[12:13], v[8:9], v[21:22]
	v_fma_f64 v[21:22], -v[12:13], v[8:9], v[14:15]
	v_fma_f64 v[14:15], v[32:33], v[12:13], v[34:35]
	v_fma_f64 v[19:20], -v[32:33], v[12:13], v[36:37]
	v_add_u32_e32 v23, v115, v11
	ds_write_b128 v18, v[14:17]
	ds_write_b128 v10, v[19:22] offset:31680
	ds_read_b128 v[11:14], v23
	ds_read_b128 v[15:18], v10 offset:30240
	s_waitcnt lgkmcnt(0)
	v_add_f64 v[8:9], v[11:12], -v[15:16]
	v_add_f64 v[19:20], v[13:14], v[17:18]
	v_add_f64 v[13:14], v[13:14], -v[17:18]
	v_add_f64 v[11:12], v[11:12], v[15:16]
	v_lshlrev_b64 v[17:18], 4, v[28:29]
	v_add_u32_e32 v28, 0x438, v24
	v_mul_f64 v[8:9], v[8:9], 0.5
	v_mul_f64 v[19:20], v[19:20], 0.5
	;; [unrolled: 1-line block ×3, first 2 shown]
	s_waitcnt vmcnt(1)
	v_mul_f64 v[15:16], v[8:9], v[2:3]
	v_fma_f64 v[21:22], v[19:20], v[2:3], v[13:14]
	v_fma_f64 v[2:3], v[19:20], v[2:3], -v[13:14]
	v_fma_f64 v[32:33], v[11:12], 0.5, v[15:16]
	v_fma_f64 v[34:35], v[11:12], 0.5, -v[15:16]
	v_add_co_u32_e32 v11, vcc, s6, v17
	v_addc_co_u32_e32 v12, vcc, v25, v18, vcc
	global_load_dwordx4 v[11:14], v[11:12], off
	v_fma_f64 v[17:18], -v[0:1], v[8:9], v[21:22]
	v_fma_f64 v[15:16], v[19:20], v[0:1], v[32:33]
	v_fma_f64 v[2:3], -v[0:1], v[8:9], v[2:3]
	v_fma_f64 v[0:1], -v[19:20], v[0:1], v[34:35]
	ds_write_b128 v23, v[15:18]
	ds_write_b128 v10, v[0:3] offset:30240
	ds_read_b128 v[0:3], v114 offset:14400
	ds_read_b128 v[15:18], v10 offset:28800
	v_mov_b32_e32 v23, s7
	s_waitcnt lgkmcnt(0)
	v_add_f64 v[8:9], v[0:1], -v[15:16]
	v_add_f64 v[19:20], v[2:3], v[17:18]
	v_add_f64 v[2:3], v[2:3], -v[17:18]
	v_add_f64 v[0:1], v[0:1], v[15:16]
	v_lshlrev_b64 v[15:16], 4, v[28:29]
	v_add_u32_e32 v28, 0x492, v24
	v_mul_f64 v[17:18], v[8:9], 0.5
	v_mul_f64 v[19:20], v[19:20], 0.5
	;; [unrolled: 1-line block ×3, first 2 shown]
	s_waitcnt vmcnt(1)
	v_mul_f64 v[8:9], v[17:18], v[6:7]
	v_fma_f64 v[21:22], v[19:20], v[6:7], v[2:3]
	v_fma_f64 v[6:7], v[19:20], v[6:7], -v[2:3]
	v_fma_f64 v[32:33], v[0:1], 0.5, v[8:9]
	v_fma_f64 v[34:35], v[0:1], 0.5, -v[8:9]
	v_add_co_u32_e32 v0, vcc, s6, v15
	v_addc_co_u32_e32 v1, vcc, v23, v16, vcc
	global_load_dwordx4 v[0:3], v[0:1], off
	v_fma_f64 v[8:9], -v[4:5], v[17:18], v[21:22]
	v_fma_f64 v[17:18], -v[4:5], v[17:18], v[6:7]
	v_fma_f64 v[6:7], v[19:20], v[4:5], v[32:33]
	v_fma_f64 v[15:16], -v[19:20], v[4:5], v[34:35]
	ds_write_b128 v114, v[6:9] offset:14400
	ds_write_b128 v10, v[15:18] offset:28800
	ds_read_b128 v[4:7], v114 offset:15840
	ds_read_b128 v[15:18], v10 offset:27360
	s_waitcnt lgkmcnt(0)
	v_add_f64 v[8:9], v[4:5], -v[15:16]
	v_add_f64 v[19:20], v[6:7], v[17:18]
	v_add_f64 v[6:7], v[6:7], -v[17:18]
	v_add_f64 v[4:5], v[4:5], v[15:16]
	v_mul_f64 v[8:9], v[8:9], 0.5
	v_mul_f64 v[17:18], v[19:20], 0.5
	;; [unrolled: 1-line block ×3, first 2 shown]
	v_lshlrev_b64 v[19:20], 4, v[28:29]
	v_add_u32_e32 v28, 0x4ec, v24
	s_waitcnt vmcnt(1)
	v_mul_f64 v[15:16], v[8:9], v[13:14]
	v_fma_f64 v[21:22], v[17:18], v[13:14], v[6:7]
	v_fma_f64 v[13:14], v[17:18], v[13:14], -v[6:7]
	v_fma_f64 v[32:33], v[4:5], 0.5, v[15:16]
	v_fma_f64 v[34:35], v[4:5], 0.5, -v[15:16]
	v_add_co_u32_e32 v4, vcc, s6, v19
	v_addc_co_u32_e32 v5, vcc, v23, v20, vcc
	global_load_dwordx4 v[4:7], v[4:5], off
	v_fma_f64 v[15:16], -v[11:12], v[8:9], v[21:22]
	v_fma_f64 v[19:20], -v[11:12], v[8:9], v[13:14]
	v_fma_f64 v[13:14], v[17:18], v[11:12], v[32:33]
	v_fma_f64 v[17:18], -v[17:18], v[11:12], v[34:35]
	ds_write_b128 v114, v[13:16] offset:15840
	ds_write_b128 v10, v[17:20] offset:27360
	ds_read_b128 v[11:14], v114 offset:17280
	ds_read_b128 v[15:18], v10 offset:25920
	s_waitcnt lgkmcnt(0)
	v_add_f64 v[8:9], v[11:12], -v[15:16]
	v_add_f64 v[19:20], v[13:14], v[17:18]
	v_add_f64 v[13:14], v[13:14], -v[17:18]
	v_add_f64 v[11:12], v[11:12], v[15:16]
	v_lshlrev_b64 v[17:18], 4, v[28:29]
	v_mul_f64 v[8:9], v[8:9], 0.5
	v_mul_f64 v[19:20], v[19:20], 0.5
	;; [unrolled: 1-line block ×3, first 2 shown]
	s_waitcnt vmcnt(1)
	v_mul_f64 v[15:16], v[8:9], v[2:3]
	v_fma_f64 v[21:22], v[19:20], v[2:3], v[13:14]
	v_fma_f64 v[2:3], v[19:20], v[2:3], -v[13:14]
	v_fma_f64 v[32:33], v[11:12], 0.5, v[15:16]
	v_fma_f64 v[34:35], v[11:12], 0.5, -v[15:16]
	v_add_co_u32_e32 v11, vcc, s6, v17
	v_addc_co_u32_e32 v12, vcc, v23, v18, vcc
	global_load_dwordx4 v[11:14], v[11:12], off
	v_fma_f64 v[17:18], -v[0:1], v[8:9], v[21:22]
	v_fma_f64 v[15:16], v[19:20], v[0:1], v[32:33]
	v_fma_f64 v[2:3], -v[0:1], v[8:9], v[2:3]
	v_fma_f64 v[0:1], -v[19:20], v[0:1], v[34:35]
	ds_write_b128 v114, v[15:18] offset:17280
	ds_write_b128 v10, v[0:3] offset:25920
	ds_read_b128 v[0:3], v114 offset:18720
	ds_read_b128 v[15:18], v10 offset:24480
	s_waitcnt lgkmcnt(0)
	v_add_f64 v[8:9], v[0:1], -v[15:16]
	v_add_f64 v[19:20], v[2:3], v[17:18]
	v_add_f64 v[2:3], v[2:3], -v[17:18]
	v_add_f64 v[0:1], v[0:1], v[15:16]
	v_mul_f64 v[8:9], v[8:9], 0.5
	v_mul_f64 v[17:18], v[19:20], 0.5
	;; [unrolled: 1-line block ×3, first 2 shown]
	s_waitcnt vmcnt(1)
	v_mul_f64 v[15:16], v[8:9], v[6:7]
	v_fma_f64 v[19:20], v[17:18], v[6:7], v[2:3]
	v_fma_f64 v[6:7], v[17:18], v[6:7], -v[2:3]
	v_fma_f64 v[21:22], v[0:1], 0.5, v[15:16]
	v_fma_f64 v[15:16], v[0:1], 0.5, -v[15:16]
	v_fma_f64 v[2:3], -v[4:5], v[8:9], v[19:20]
	v_fma_f64 v[6:7], -v[4:5], v[8:9], v[6:7]
	v_fma_f64 v[0:1], v[17:18], v[4:5], v[21:22]
	v_fma_f64 v[4:5], -v[17:18], v[4:5], v[15:16]
	ds_write_b128 v114, v[0:3] offset:18720
	ds_write_b128 v10, v[4:7] offset:24480
	ds_read_b128 v[0:3], v114 offset:20160
	ds_read_b128 v[4:7], v10 offset:23040
	s_waitcnt lgkmcnt(0)
	v_add_f64 v[8:9], v[0:1], -v[4:5]
	v_add_f64 v[15:16], v[2:3], v[6:7]
	v_add_f64 v[2:3], v[2:3], -v[6:7]
	v_add_f64 v[0:1], v[0:1], v[4:5]
	v_mul_f64 v[6:7], v[8:9], 0.5
	v_mul_f64 v[8:9], v[15:16], 0.5
	;; [unrolled: 1-line block ×3, first 2 shown]
	s_waitcnt vmcnt(0)
	v_mul_f64 v[4:5], v[6:7], v[13:14]
	v_fma_f64 v[15:16], v[8:9], v[13:14], v[2:3]
	v_fma_f64 v[13:14], v[8:9], v[13:14], -v[2:3]
	v_fma_f64 v[17:18], v[0:1], 0.5, v[4:5]
	v_fma_f64 v[4:5], v[0:1], 0.5, -v[4:5]
	v_fma_f64 v[2:3], -v[11:12], v[6:7], v[15:16]
	v_fma_f64 v[6:7], -v[11:12], v[6:7], v[13:14]
	v_fma_f64 v[0:1], v[8:9], v[11:12], v[17:18]
	v_fma_f64 v[4:5], -v[8:9], v[11:12], v[4:5]
	ds_write_b128 v114, v[0:3] offset:20160
	ds_write_b128 v10, v[4:7] offset:23040
	s_waitcnt lgkmcnt(0)
	s_barrier
	s_and_saveexec_b64 s[4:5], s[0:1]
	s_cbranch_execz .LBB0_20
; %bb.18:
	v_mul_lo_u32 v2, s3, v30
	v_mul_lo_u32 v3, s2, v31
	v_mad_u64_u32 v[0:1], s[0:1], s2, v30, 0
	v_mov_b32_e32 v6, s11
	v_lshl_add_u32 v16, v24, 4, 0
	v_add3_u32 v1, v1, v3, v2
	v_lshlrev_b64 v[0:1], 4, v[0:1]
	v_mov_b32_e32 v25, v29
	v_add_co_u32_e32 v0, vcc, s10, v0
	v_addc_co_u32_e32 v8, vcc, v6, v1, vcc
	v_lshlrev_b64 v[6:7], 4, v[26:27]
	ds_read_b128 v[2:5], v16
	v_add_co_u32_e32 v1, vcc, v0, v6
	v_addc_co_u32_e32 v0, vcc, v8, v7, vcc
	v_lshlrev_b64 v[6:7], 4, v[24:25]
	v_add_u32_e32 v28, 0x5a, v24
	v_add_co_u32_e32 v10, vcc, v1, v6
	v_addc_co_u32_e32 v11, vcc, v0, v7, vcc
	ds_read_b128 v[6:9], v16 offset:41760
	s_waitcnt lgkmcnt(1)
	global_store_dwordx4 v[10:11], v[2:5], off
	ds_read_b128 v[2:5], v16 offset:1440
	v_lshlrev_b64 v[10:11], 4, v[28:29]
	v_add_u32_e32 v28, 0xb4, v24
	v_add_co_u32_e32 v14, vcc, v1, v10
	v_addc_co_u32_e32 v15, vcc, v0, v11, vcc
	ds_read_b128 v[10:13], v16 offset:2880
	s_waitcnt lgkmcnt(1)
	global_store_dwordx4 v[14:15], v[2:5], off
	s_movk_i32 s0, 0x59
	v_lshlrev_b64 v[2:3], 4, v[28:29]
	v_add_u32_e32 v28, 0x10e, v24
	v_add_co_u32_e32 v2, vcc, v1, v2
	v_addc_co_u32_e32 v3, vcc, v0, v3, vcc
	s_waitcnt lgkmcnt(0)
	global_store_dwordx4 v[2:3], v[10:13], off
	ds_read_b128 v[2:5], v16 offset:4320
	v_lshlrev_b64 v[10:11], 4, v[28:29]
	v_add_u32_e32 v28, 0x168, v24
	v_add_co_u32_e32 v14, vcc, v1, v10
	v_addc_co_u32_e32 v15, vcc, v0, v11, vcc
	ds_read_b128 v[10:13], v16 offset:5760
	s_waitcnt lgkmcnt(1)
	global_store_dwordx4 v[14:15], v[2:5], off
	s_nop 0
	v_lshlrev_b64 v[2:3], 4, v[28:29]
	v_add_u32_e32 v28, 0x1c2, v24
	v_add_co_u32_e32 v2, vcc, v1, v2
	v_addc_co_u32_e32 v3, vcc, v0, v3, vcc
	s_waitcnt lgkmcnt(0)
	global_store_dwordx4 v[2:3], v[10:13], off
	ds_read_b128 v[2:5], v16 offset:7200
	v_lshlrev_b64 v[10:11], 4, v[28:29]
	v_add_u32_e32 v28, 0x21c, v24
	v_add_co_u32_e32 v14, vcc, v1, v10
	v_addc_co_u32_e32 v15, vcc, v0, v11, vcc
	ds_read_b128 v[10:13], v16 offset:8640
	s_waitcnt lgkmcnt(1)
	global_store_dwordx4 v[14:15], v[2:5], off
	s_nop 0
	;; [unrolled: 15-line block ×13, first 2 shown]
	v_lshlrev_b64 v[2:3], 4, v[28:29]
	v_add_u32_e32 v28, 0xa32, v24
	v_add_co_u32_e32 v2, vcc, v1, v2
	v_addc_co_u32_e32 v3, vcc, v0, v3, vcc
	s_waitcnt lgkmcnt(0)
	global_store_dwordx4 v[2:3], v[10:13], off
	v_lshlrev_b64 v[2:3], 4, v[28:29]
	v_add_co_u32_e32 v2, vcc, v1, v2
	v_addc_co_u32_e32 v3, vcc, v0, v3, vcc
	v_cmp_eq_u32_e32 vcc, s0, v24
	global_store_dwordx4 v[2:3], v[6:9], off
	s_and_b64 exec, exec, vcc
	s_cbranch_execz .LBB0_20
; %bb.19:
	v_mov_b32_e32 v2, 0
	ds_read_b128 v[2:5], v2 offset:43200
	v_add_co_u32_e32 v6, vcc, 0xa000, v1
	v_addc_co_u32_e32 v7, vcc, 0, v0, vcc
	s_waitcnt lgkmcnt(0)
	global_store_dwordx4 v[6:7], v[2:5], off offset:2240
.LBB0_20:
	s_endpgm
	.section	.rodata,"a",@progbits
	.p2align	6, 0x0
	.amdhsa_kernel fft_rtc_back_len2700_factors_3_10_10_3_3_wgs_90_tpt_90_halfLds_dp_op_CI_CI_unitstride_sbrr_R2C_dirReg
		.amdhsa_group_segment_fixed_size 0
		.amdhsa_private_segment_fixed_size 0
		.amdhsa_kernarg_size 104
		.amdhsa_user_sgpr_count 6
		.amdhsa_user_sgpr_private_segment_buffer 1
		.amdhsa_user_sgpr_dispatch_ptr 0
		.amdhsa_user_sgpr_queue_ptr 0
		.amdhsa_user_sgpr_kernarg_segment_ptr 1
		.amdhsa_user_sgpr_dispatch_id 0
		.amdhsa_user_sgpr_flat_scratch_init 0
		.amdhsa_user_sgpr_private_segment_size 0
		.amdhsa_uses_dynamic_stack 0
		.amdhsa_system_sgpr_private_segment_wavefront_offset 0
		.amdhsa_system_sgpr_workgroup_id_x 1
		.amdhsa_system_sgpr_workgroup_id_y 0
		.amdhsa_system_sgpr_workgroup_id_z 0
		.amdhsa_system_sgpr_workgroup_info 0
		.amdhsa_system_vgpr_workitem_id 0
		.amdhsa_next_free_vgpr 215
		.amdhsa_next_free_sgpr 29
		.amdhsa_reserve_vcc 1
		.amdhsa_reserve_flat_scratch 0
		.amdhsa_float_round_mode_32 0
		.amdhsa_float_round_mode_16_64 0
		.amdhsa_float_denorm_mode_32 3
		.amdhsa_float_denorm_mode_16_64 3
		.amdhsa_dx10_clamp 1
		.amdhsa_ieee_mode 1
		.amdhsa_fp16_overflow 0
		.amdhsa_exception_fp_ieee_invalid_op 0
		.amdhsa_exception_fp_denorm_src 0
		.amdhsa_exception_fp_ieee_div_zero 0
		.amdhsa_exception_fp_ieee_overflow 0
		.amdhsa_exception_fp_ieee_underflow 0
		.amdhsa_exception_fp_ieee_inexact 0
		.amdhsa_exception_int_div_zero 0
	.end_amdhsa_kernel
	.text
.Lfunc_end0:
	.size	fft_rtc_back_len2700_factors_3_10_10_3_3_wgs_90_tpt_90_halfLds_dp_op_CI_CI_unitstride_sbrr_R2C_dirReg, .Lfunc_end0-fft_rtc_back_len2700_factors_3_10_10_3_3_wgs_90_tpt_90_halfLds_dp_op_CI_CI_unitstride_sbrr_R2C_dirReg
                                        ; -- End function
	.section	.AMDGPU.csdata,"",@progbits
; Kernel info:
; codeLenInByte = 25552
; NumSgprs: 33
; NumVgprs: 215
; ScratchSize: 0
; MemoryBound: 0
; FloatMode: 240
; IeeeMode: 1
; LDSByteSize: 0 bytes/workgroup (compile time only)
; SGPRBlocks: 4
; VGPRBlocks: 53
; NumSGPRsForWavesPerEU: 33
; NumVGPRsForWavesPerEU: 215
; Occupancy: 1
; WaveLimiterHint : 1
; COMPUTE_PGM_RSRC2:SCRATCH_EN: 0
; COMPUTE_PGM_RSRC2:USER_SGPR: 6
; COMPUTE_PGM_RSRC2:TRAP_HANDLER: 0
; COMPUTE_PGM_RSRC2:TGID_X_EN: 1
; COMPUTE_PGM_RSRC2:TGID_Y_EN: 0
; COMPUTE_PGM_RSRC2:TGID_Z_EN: 0
; COMPUTE_PGM_RSRC2:TIDIG_COMP_CNT: 0
	.type	__hip_cuid_73fdeaa4306a61ba,@object ; @__hip_cuid_73fdeaa4306a61ba
	.section	.bss,"aw",@nobits
	.globl	__hip_cuid_73fdeaa4306a61ba
__hip_cuid_73fdeaa4306a61ba:
	.byte	0                               ; 0x0
	.size	__hip_cuid_73fdeaa4306a61ba, 1

	.ident	"AMD clang version 19.0.0git (https://github.com/RadeonOpenCompute/llvm-project roc-6.4.0 25133 c7fe45cf4b819c5991fe208aaa96edf142730f1d)"
	.section	".note.GNU-stack","",@progbits
	.addrsig
	.addrsig_sym __hip_cuid_73fdeaa4306a61ba
	.amdgpu_metadata
---
amdhsa.kernels:
  - .args:
      - .actual_access:  read_only
        .address_space:  global
        .offset:         0
        .size:           8
        .value_kind:     global_buffer
      - .offset:         8
        .size:           8
        .value_kind:     by_value
      - .actual_access:  read_only
        .address_space:  global
        .offset:         16
        .size:           8
        .value_kind:     global_buffer
      - .actual_access:  read_only
        .address_space:  global
        .offset:         24
        .size:           8
        .value_kind:     global_buffer
      - .actual_access:  read_only
        .address_space:  global
        .offset:         32
        .size:           8
        .value_kind:     global_buffer
      - .offset:         40
        .size:           8
        .value_kind:     by_value
      - .actual_access:  read_only
        .address_space:  global
        .offset:         48
        .size:           8
        .value_kind:     global_buffer
      - .actual_access:  read_only
        .address_space:  global
        .offset:         56
        .size:           8
        .value_kind:     global_buffer
      - .offset:         64
        .size:           4
        .value_kind:     by_value
      - .actual_access:  read_only
        .address_space:  global
        .offset:         72
        .size:           8
        .value_kind:     global_buffer
      - .actual_access:  read_only
        .address_space:  global
        .offset:         80
        .size:           8
        .value_kind:     global_buffer
      - .actual_access:  read_only
        .address_space:  global
        .offset:         88
        .size:           8
        .value_kind:     global_buffer
      - .actual_access:  write_only
        .address_space:  global
        .offset:         96
        .size:           8
        .value_kind:     global_buffer
    .group_segment_fixed_size: 0
    .kernarg_segment_align: 8
    .kernarg_segment_size: 104
    .language:       OpenCL C
    .language_version:
      - 2
      - 0
    .max_flat_workgroup_size: 90
    .name:           fft_rtc_back_len2700_factors_3_10_10_3_3_wgs_90_tpt_90_halfLds_dp_op_CI_CI_unitstride_sbrr_R2C_dirReg
    .private_segment_fixed_size: 0
    .sgpr_count:     33
    .sgpr_spill_count: 0
    .symbol:         fft_rtc_back_len2700_factors_3_10_10_3_3_wgs_90_tpt_90_halfLds_dp_op_CI_CI_unitstride_sbrr_R2C_dirReg.kd
    .uniform_work_group_size: 1
    .uses_dynamic_stack: false
    .vgpr_count:     215
    .vgpr_spill_count: 0
    .wavefront_size: 64
amdhsa.target:   amdgcn-amd-amdhsa--gfx906
amdhsa.version:
  - 1
  - 2
...

	.end_amdgpu_metadata
